;; amdgpu-corpus repo=pytorch/pytorch kind=compiled arch=gfx1100 opt=O3
	.text
	.amdgcn_target "amdgcn-amd-amdhsa--gfx1100"
	.amdhsa_code_object_version 6
	.section	.text._ZN2at6native12_GLOBAL__N_128upsample_nearest1d_out_frameIdXadL_ZNS0_37nearest_neighbor_compute_source_indexEfiiEEEEvPKT_mmmmPS3_f,"axG",@progbits,_ZN2at6native12_GLOBAL__N_128upsample_nearest1d_out_frameIdXadL_ZNS0_37nearest_neighbor_compute_source_indexEfiiEEEEvPKT_mmmmPS3_f,comdat
	.globl	_ZN2at6native12_GLOBAL__N_128upsample_nearest1d_out_frameIdXadL_ZNS0_37nearest_neighbor_compute_source_indexEfiiEEEEvPKT_mmmmPS3_f ; -- Begin function _ZN2at6native12_GLOBAL__N_128upsample_nearest1d_out_frameIdXadL_ZNS0_37nearest_neighbor_compute_source_indexEfiiEEEEvPKT_mmmmPS3_f
	.p2align	8
	.type	_ZN2at6native12_GLOBAL__N_128upsample_nearest1d_out_frameIdXadL_ZNS0_37nearest_neighbor_compute_source_indexEfiiEEEEvPKT_mmmmPS3_f,@function
_ZN2at6native12_GLOBAL__N_128upsample_nearest1d_out_frameIdXadL_ZNS0_37nearest_neighbor_compute_source_indexEfiiEEEEvPKT_mmmmPS3_f: ; @_ZN2at6native12_GLOBAL__N_128upsample_nearest1d_out_frameIdXadL_ZNS0_37nearest_neighbor_compute_source_indexEfiiEEEEvPKT_mmmmPS3_f
; %bb.0:
	s_clause 0x2
	s_load_b32 s2, s[0:1], 0x44
	s_load_b128 s[16:19], s[0:1], 0x20
	s_load_b256 s[4:11], s[0:1], 0x0
	s_waitcnt lgkmcnt(0)
	s_and_b32 s2, s2, 0xffff
	s_delay_alu instid0(SALU_CYCLE_1)
	v_mad_u64_u32 v[1:2], null, s15, s2, v[0:1]
	s_mul_i32 s2, s16, s9
	s_mul_hi_u32 s3, s16, s8
	s_mul_i32 s12, s16, s8
	s_add_i32 s2, s3, s2
	s_mul_i32 s3, s17, s8
	s_delay_alu instid0(SALU_CYCLE_1) | instskip(NEXT) | instid1(VALU_DEP_1)
	s_add_i32 s13, s2, s3
	v_ashrrev_i32_e32 v2, 31, v1
	s_mov_b32 s2, exec_lo
	s_delay_alu instid0(VALU_DEP_1)
	v_cmpx_gt_u64_e64 s[12:13], v[1:2]
	s_cbranch_execz .LBB0_12
; %bb.1:
	s_cmp_eq_u64 s[6:7], 0
	s_cbranch_scc1 .LBB0_12
; %bb.2:
	v_or_b32_e32 v4, s17, v2
	v_mov_b32_e32 v3, 0
	s_delay_alu instid0(VALU_DEP_1) | instskip(SKIP_1) | instid1(SALU_CYCLE_1)
	v_cmp_ne_u64_e32 vcc_lo, 0, v[3:4]
                                        ; implicit-def: $vgpr3_vgpr4
	s_and_saveexec_b32 s2, vcc_lo
	s_xor_b32 s3, exec_lo, s2
	s_cbranch_execz .LBB0_4
; %bb.3:
	v_cvt_f32_u32_e32 v0, s16
	v_cvt_f32_u32_e32 v3, s17
	s_sub_u32 s2, 0, s16
	s_subb_u32 s11, 0, s17
	s_delay_alu instid0(VALU_DEP_1) | instskip(NEXT) | instid1(VALU_DEP_1)
	v_fmamk_f32 v0, v3, 0x4f800000, v0
	v_rcp_f32_e32 v0, v0
	s_waitcnt_depctr 0xfff
	v_mul_f32_e32 v0, 0x5f7ffffc, v0
	s_delay_alu instid0(VALU_DEP_1) | instskip(NEXT) | instid1(VALU_DEP_1)
	v_mul_f32_e32 v3, 0x2f800000, v0
	v_trunc_f32_e32 v3, v3
	s_delay_alu instid0(VALU_DEP_1) | instskip(SKIP_1) | instid1(VALU_DEP_2)
	v_fmamk_f32 v0, v3, 0xcf800000, v0
	v_cvt_u32_f32_e32 v3, v3
	v_cvt_u32_f32_e32 v0, v0
	s_delay_alu instid0(VALU_DEP_2) | instskip(NEXT) | instid1(VALU_DEP_2)
	v_mul_lo_u32 v4, s2, v3
	v_mul_hi_u32 v5, s2, v0
	v_mul_lo_u32 v6, s11, v0
	s_delay_alu instid0(VALU_DEP_2) | instskip(SKIP_1) | instid1(VALU_DEP_2)
	v_add_nc_u32_e32 v4, v5, v4
	v_mul_lo_u32 v5, s2, v0
	v_add_nc_u32_e32 v4, v4, v6
	s_delay_alu instid0(VALU_DEP_2) | instskip(NEXT) | instid1(VALU_DEP_2)
	v_mul_hi_u32 v6, v0, v5
	v_mul_lo_u32 v7, v0, v4
	v_mul_hi_u32 v8, v0, v4
	v_mul_hi_u32 v9, v3, v5
	v_mul_lo_u32 v5, v3, v5
	v_mul_hi_u32 v10, v3, v4
	v_mul_lo_u32 v4, v3, v4
	v_add_co_u32 v6, vcc_lo, v6, v7
	v_add_co_ci_u32_e32 v7, vcc_lo, 0, v8, vcc_lo
	s_delay_alu instid0(VALU_DEP_2) | instskip(NEXT) | instid1(VALU_DEP_2)
	v_add_co_u32 v5, vcc_lo, v6, v5
	v_add_co_ci_u32_e32 v5, vcc_lo, v7, v9, vcc_lo
	v_add_co_ci_u32_e32 v6, vcc_lo, 0, v10, vcc_lo
	s_delay_alu instid0(VALU_DEP_2) | instskip(NEXT) | instid1(VALU_DEP_2)
	v_add_co_u32 v4, vcc_lo, v5, v4
	v_add_co_ci_u32_e32 v5, vcc_lo, 0, v6, vcc_lo
	s_delay_alu instid0(VALU_DEP_2) | instskip(NEXT) | instid1(VALU_DEP_2)
	v_add_co_u32 v0, vcc_lo, v0, v4
	v_add_co_ci_u32_e32 v3, vcc_lo, v3, v5, vcc_lo
	s_delay_alu instid0(VALU_DEP_2) | instskip(SKIP_1) | instid1(VALU_DEP_3)
	v_mul_hi_u32 v4, s2, v0
	v_mul_lo_u32 v6, s11, v0
	v_mul_lo_u32 v5, s2, v3
	s_delay_alu instid0(VALU_DEP_1) | instskip(SKIP_1) | instid1(VALU_DEP_2)
	v_add_nc_u32_e32 v4, v4, v5
	v_mul_lo_u32 v5, s2, v0
	v_add_nc_u32_e32 v4, v4, v6
	s_delay_alu instid0(VALU_DEP_2) | instskip(NEXT) | instid1(VALU_DEP_2)
	v_mul_hi_u32 v6, v0, v5
	v_mul_lo_u32 v7, v0, v4
	v_mul_hi_u32 v8, v0, v4
	v_mul_hi_u32 v9, v3, v5
	v_mul_lo_u32 v5, v3, v5
	v_mul_hi_u32 v10, v3, v4
	v_mul_lo_u32 v4, v3, v4
	v_add_co_u32 v6, vcc_lo, v6, v7
	v_add_co_ci_u32_e32 v7, vcc_lo, 0, v8, vcc_lo
	s_delay_alu instid0(VALU_DEP_2) | instskip(NEXT) | instid1(VALU_DEP_2)
	v_add_co_u32 v5, vcc_lo, v6, v5
	v_add_co_ci_u32_e32 v5, vcc_lo, v7, v9, vcc_lo
	v_add_co_ci_u32_e32 v6, vcc_lo, 0, v10, vcc_lo
	s_delay_alu instid0(VALU_DEP_2) | instskip(NEXT) | instid1(VALU_DEP_2)
	v_add_co_u32 v4, vcc_lo, v5, v4
	v_add_co_ci_u32_e32 v5, vcc_lo, 0, v6, vcc_lo
	s_delay_alu instid0(VALU_DEP_2) | instskip(NEXT) | instid1(VALU_DEP_2)
	v_add_co_u32 v0, vcc_lo, v0, v4
	v_add_co_ci_u32_e32 v9, vcc_lo, v3, v5, vcc_lo
	s_delay_alu instid0(VALU_DEP_2) | instskip(SKIP_1) | instid1(VALU_DEP_3)
	v_mul_hi_u32 v10, v1, v0
	v_mad_u64_u32 v[5:6], null, v2, v0, 0
	v_mad_u64_u32 v[3:4], null, v1, v9, 0
	;; [unrolled: 1-line block ×3, first 2 shown]
	s_delay_alu instid0(VALU_DEP_2) | instskip(NEXT) | instid1(VALU_DEP_3)
	v_add_co_u32 v0, vcc_lo, v10, v3
	v_add_co_ci_u32_e32 v3, vcc_lo, 0, v4, vcc_lo
	s_delay_alu instid0(VALU_DEP_2) | instskip(NEXT) | instid1(VALU_DEP_2)
	v_add_co_u32 v0, vcc_lo, v0, v5
	v_add_co_ci_u32_e32 v0, vcc_lo, v3, v6, vcc_lo
	v_add_co_ci_u32_e32 v3, vcc_lo, 0, v8, vcc_lo
	s_delay_alu instid0(VALU_DEP_2) | instskip(NEXT) | instid1(VALU_DEP_2)
	v_add_co_u32 v0, vcc_lo, v0, v7
	v_add_co_ci_u32_e32 v5, vcc_lo, 0, v3, vcc_lo
	s_delay_alu instid0(VALU_DEP_2) | instskip(SKIP_1) | instid1(VALU_DEP_3)
	v_mul_lo_u32 v6, s17, v0
	v_mad_u64_u32 v[3:4], null, s16, v0, 0
	v_mul_lo_u32 v7, s16, v5
	s_delay_alu instid0(VALU_DEP_2) | instskip(NEXT) | instid1(VALU_DEP_2)
	v_sub_co_u32 v3, vcc_lo, v1, v3
	v_add3_u32 v4, v4, v7, v6
	s_delay_alu instid0(VALU_DEP_1) | instskip(NEXT) | instid1(VALU_DEP_1)
	v_sub_nc_u32_e32 v6, v2, v4
	v_subrev_co_ci_u32_e64 v6, s2, s17, v6, vcc_lo
	v_add_co_u32 v7, s2, v0, 2
	s_delay_alu instid0(VALU_DEP_1) | instskip(SKIP_3) | instid1(VALU_DEP_3)
	v_add_co_ci_u32_e64 v8, s2, 0, v5, s2
	v_sub_co_u32 v9, s2, v3, s16
	v_sub_co_ci_u32_e32 v4, vcc_lo, v2, v4, vcc_lo
	v_subrev_co_ci_u32_e64 v6, s2, 0, v6, s2
	v_cmp_le_u32_e32 vcc_lo, s16, v9
	s_delay_alu instid0(VALU_DEP_3) | instskip(SKIP_1) | instid1(VALU_DEP_4)
	v_cmp_eq_u32_e64 s2, s17, v4
	v_cndmask_b32_e64 v9, 0, -1, vcc_lo
	v_cmp_le_u32_e32 vcc_lo, s17, v6
	v_cndmask_b32_e64 v10, 0, -1, vcc_lo
	v_cmp_le_u32_e32 vcc_lo, s16, v3
	;; [unrolled: 2-line block ×3, first 2 shown]
	v_cndmask_b32_e64 v11, 0, -1, vcc_lo
	v_cmp_eq_u32_e32 vcc_lo, s17, v6
	s_delay_alu instid0(VALU_DEP_2) | instskip(SKIP_3) | instid1(VALU_DEP_3)
	v_cndmask_b32_e64 v3, v11, v3, s2
	v_cndmask_b32_e32 v6, v10, v9, vcc_lo
	v_add_co_u32 v9, vcc_lo, v0, 1
	v_add_co_ci_u32_e32 v10, vcc_lo, 0, v5, vcc_lo
	v_cmp_ne_u32_e32 vcc_lo, 0, v6
	s_delay_alu instid0(VALU_DEP_2) | instskip(NEXT) | instid1(VALU_DEP_4)
	v_cndmask_b32_e32 v4, v10, v8, vcc_lo
	v_cndmask_b32_e32 v6, v9, v7, vcc_lo
	v_cmp_ne_u32_e32 vcc_lo, 0, v3
	s_delay_alu instid0(VALU_DEP_2)
	v_dual_cndmask_b32 v3, v0, v6 :: v_dual_cndmask_b32 v4, v5, v4
.LBB0_4:
	s_and_not1_saveexec_b32 s2, s3
	s_cbranch_execz .LBB0_6
; %bb.5:
	v_cvt_f32_u32_e32 v0, s16
	s_sub_i32 s3, 0, s16
	s_delay_alu instid0(VALU_DEP_1) | instskip(SKIP_2) | instid1(VALU_DEP_1)
	v_rcp_iflag_f32_e32 v0, v0
	s_waitcnt_depctr 0xfff
	v_mul_f32_e32 v0, 0x4f7ffffe, v0
	v_cvt_u32_f32_e32 v0, v0
	s_delay_alu instid0(VALU_DEP_1) | instskip(NEXT) | instid1(VALU_DEP_1)
	v_mul_lo_u32 v3, s3, v0
	v_mul_hi_u32 v3, v0, v3
	s_delay_alu instid0(VALU_DEP_1) | instskip(NEXT) | instid1(VALU_DEP_1)
	v_add_nc_u32_e32 v0, v0, v3
	v_mul_hi_u32 v0, v1, v0
	s_delay_alu instid0(VALU_DEP_1) | instskip(SKIP_1) | instid1(VALU_DEP_2)
	v_mul_lo_u32 v3, v0, s16
	v_add_nc_u32_e32 v4, 1, v0
	v_sub_nc_u32_e32 v3, v1, v3
	s_delay_alu instid0(VALU_DEP_1) | instskip(SKIP_1) | instid1(VALU_DEP_2)
	v_subrev_nc_u32_e32 v5, s16, v3
	v_cmp_le_u32_e32 vcc_lo, s16, v3
	v_dual_cndmask_b32 v3, v3, v5 :: v_dual_cndmask_b32 v0, v0, v4
	s_delay_alu instid0(VALU_DEP_1) | instskip(NEXT) | instid1(VALU_DEP_2)
	v_cmp_le_u32_e32 vcc_lo, s16, v3
	v_add_nc_u32_e32 v4, 1, v0
	s_delay_alu instid0(VALU_DEP_1)
	v_dual_cndmask_b32 v3, v0, v4 :: v_dual_mov_b32 v4, 0
.LBB0_6:
	s_or_b32 exec_lo, exec_lo, s2
	s_delay_alu instid0(VALU_DEP_1) | instskip(SKIP_1) | instid1(VALU_DEP_1)
	v_or_b32_e32 v6, s9, v4
	v_mov_b32_e32 v5, 0
	v_cmp_ne_u64_e32 vcc_lo, 0, v[5:6]
                                        ; implicit-def: $vgpr5_vgpr6
	s_and_saveexec_b32 s2, vcc_lo
	s_delay_alu instid0(SALU_CYCLE_1)
	s_xor_b32 s3, exec_lo, s2
	s_cbranch_execz .LBB0_8
; %bb.7:
	v_cvt_f32_u32_e32 v0, s8
	v_cvt_f32_u32_e32 v5, s9
	s_sub_u32 s2, 0, s8
	s_subb_u32 s11, 0, s9
	s_delay_alu instid0(VALU_DEP_1) | instskip(NEXT) | instid1(VALU_DEP_1)
	v_fmamk_f32 v0, v5, 0x4f800000, v0
	v_rcp_f32_e32 v0, v0
	s_waitcnt_depctr 0xfff
	v_mul_f32_e32 v0, 0x5f7ffffc, v0
	s_delay_alu instid0(VALU_DEP_1) | instskip(NEXT) | instid1(VALU_DEP_1)
	v_mul_f32_e32 v5, 0x2f800000, v0
	v_trunc_f32_e32 v5, v5
	s_delay_alu instid0(VALU_DEP_1) | instskip(SKIP_1) | instid1(VALU_DEP_2)
	v_fmamk_f32 v0, v5, 0xcf800000, v0
	v_cvt_u32_f32_e32 v5, v5
	v_cvt_u32_f32_e32 v0, v0
	s_delay_alu instid0(VALU_DEP_2) | instskip(NEXT) | instid1(VALU_DEP_2)
	v_mul_lo_u32 v6, s2, v5
	v_mul_hi_u32 v7, s2, v0
	v_mul_lo_u32 v8, s11, v0
	s_delay_alu instid0(VALU_DEP_2) | instskip(SKIP_1) | instid1(VALU_DEP_2)
	v_add_nc_u32_e32 v6, v7, v6
	v_mul_lo_u32 v7, s2, v0
	v_add_nc_u32_e32 v6, v6, v8
	s_delay_alu instid0(VALU_DEP_2) | instskip(NEXT) | instid1(VALU_DEP_2)
	v_mul_hi_u32 v8, v0, v7
	v_mul_lo_u32 v9, v0, v6
	v_mul_hi_u32 v10, v0, v6
	v_mul_hi_u32 v11, v5, v7
	v_mul_lo_u32 v7, v5, v7
	v_mul_hi_u32 v12, v5, v6
	v_mul_lo_u32 v6, v5, v6
	v_add_co_u32 v8, vcc_lo, v8, v9
	v_add_co_ci_u32_e32 v9, vcc_lo, 0, v10, vcc_lo
	s_delay_alu instid0(VALU_DEP_2) | instskip(NEXT) | instid1(VALU_DEP_2)
	v_add_co_u32 v7, vcc_lo, v8, v7
	v_add_co_ci_u32_e32 v7, vcc_lo, v9, v11, vcc_lo
	v_add_co_ci_u32_e32 v8, vcc_lo, 0, v12, vcc_lo
	s_delay_alu instid0(VALU_DEP_2) | instskip(NEXT) | instid1(VALU_DEP_2)
	v_add_co_u32 v6, vcc_lo, v7, v6
	v_add_co_ci_u32_e32 v7, vcc_lo, 0, v8, vcc_lo
	s_delay_alu instid0(VALU_DEP_2) | instskip(NEXT) | instid1(VALU_DEP_2)
	v_add_co_u32 v0, vcc_lo, v0, v6
	v_add_co_ci_u32_e32 v5, vcc_lo, v5, v7, vcc_lo
	s_delay_alu instid0(VALU_DEP_2) | instskip(SKIP_1) | instid1(VALU_DEP_3)
	v_mul_hi_u32 v6, s2, v0
	v_mul_lo_u32 v8, s11, v0
	v_mul_lo_u32 v7, s2, v5
	s_delay_alu instid0(VALU_DEP_1) | instskip(SKIP_1) | instid1(VALU_DEP_2)
	v_add_nc_u32_e32 v6, v6, v7
	v_mul_lo_u32 v7, s2, v0
	v_add_nc_u32_e32 v6, v6, v8
	s_delay_alu instid0(VALU_DEP_2) | instskip(NEXT) | instid1(VALU_DEP_2)
	v_mul_hi_u32 v8, v0, v7
	v_mul_lo_u32 v9, v0, v6
	v_mul_hi_u32 v10, v0, v6
	v_mul_hi_u32 v11, v5, v7
	v_mul_lo_u32 v7, v5, v7
	v_mul_hi_u32 v12, v5, v6
	v_mul_lo_u32 v6, v5, v6
	v_add_co_u32 v8, vcc_lo, v8, v9
	v_add_co_ci_u32_e32 v9, vcc_lo, 0, v10, vcc_lo
	s_delay_alu instid0(VALU_DEP_2) | instskip(NEXT) | instid1(VALU_DEP_2)
	v_add_co_u32 v7, vcc_lo, v8, v7
	v_add_co_ci_u32_e32 v7, vcc_lo, v9, v11, vcc_lo
	v_add_co_ci_u32_e32 v8, vcc_lo, 0, v12, vcc_lo
	s_delay_alu instid0(VALU_DEP_2) | instskip(NEXT) | instid1(VALU_DEP_2)
	v_add_co_u32 v6, vcc_lo, v7, v6
	v_add_co_ci_u32_e32 v7, vcc_lo, 0, v8, vcc_lo
	s_delay_alu instid0(VALU_DEP_2) | instskip(NEXT) | instid1(VALU_DEP_2)
	v_add_co_u32 v0, vcc_lo, v0, v6
	v_add_co_ci_u32_e32 v11, vcc_lo, v5, v7, vcc_lo
	s_delay_alu instid0(VALU_DEP_2) | instskip(SKIP_1) | instid1(VALU_DEP_3)
	v_mul_hi_u32 v12, v3, v0
	v_mad_u64_u32 v[7:8], null, v4, v0, 0
	v_mad_u64_u32 v[5:6], null, v3, v11, 0
	;; [unrolled: 1-line block ×3, first 2 shown]
	s_delay_alu instid0(VALU_DEP_2) | instskip(NEXT) | instid1(VALU_DEP_3)
	v_add_co_u32 v0, vcc_lo, v12, v5
	v_add_co_ci_u32_e32 v5, vcc_lo, 0, v6, vcc_lo
	s_delay_alu instid0(VALU_DEP_2) | instskip(NEXT) | instid1(VALU_DEP_2)
	v_add_co_u32 v0, vcc_lo, v0, v7
	v_add_co_ci_u32_e32 v0, vcc_lo, v5, v8, vcc_lo
	v_add_co_ci_u32_e32 v5, vcc_lo, 0, v10, vcc_lo
	s_delay_alu instid0(VALU_DEP_2) | instskip(NEXT) | instid1(VALU_DEP_2)
	v_add_co_u32 v0, vcc_lo, v0, v9
	v_add_co_ci_u32_e32 v7, vcc_lo, 0, v5, vcc_lo
	s_delay_alu instid0(VALU_DEP_2) | instskip(SKIP_1) | instid1(VALU_DEP_3)
	v_mul_lo_u32 v8, s9, v0
	v_mad_u64_u32 v[5:6], null, s8, v0, 0
	v_mul_lo_u32 v0, s8, v7
	s_delay_alu instid0(VALU_DEP_2) | instskip(NEXT) | instid1(VALU_DEP_2)
	v_sub_co_u32 v5, vcc_lo, v3, v5
	v_add3_u32 v0, v6, v0, v8
	s_delay_alu instid0(VALU_DEP_1) | instskip(NEXT) | instid1(VALU_DEP_1)
	v_sub_nc_u32_e32 v6, v4, v0
	v_subrev_co_ci_u32_e64 v6, s2, s9, v6, vcc_lo
	s_delay_alu instid0(VALU_DEP_4) | instskip(SKIP_1) | instid1(VALU_DEP_3)
	v_sub_co_u32 v7, s2, v5, s8
	v_sub_co_ci_u32_e32 v0, vcc_lo, v4, v0, vcc_lo
	v_subrev_co_ci_u32_e64 v6, s2, 0, v6, s2
	s_delay_alu instid0(VALU_DEP_3) | instskip(SKIP_1) | instid1(VALU_DEP_3)
	v_cmp_le_u32_e32 vcc_lo, s8, v7
	v_cndmask_b32_e64 v4, 0, -1, vcc_lo
	v_cmp_le_u32_e32 vcc_lo, s9, v6
	v_cndmask_b32_e64 v8, 0, -1, vcc_lo
	;; [unrolled: 2-line block ×4, first 2 shown]
	v_cmp_eq_u32_e32 vcc_lo, s9, v6
	v_cndmask_b32_e32 v4, v8, v4, vcc_lo
	v_sub_co_u32 v6, vcc_lo, v7, s8
	v_cmp_eq_u32_e32 vcc_lo, s9, v0
	v_cndmask_b32_e32 v0, v10, v9, vcc_lo
	s_delay_alu instid0(VALU_DEP_4) | instskip(NEXT) | instid1(VALU_DEP_4)
	v_cmp_ne_u32_e32 vcc_lo, 0, v4
	v_cndmask_b32_e32 v4, v7, v6, vcc_lo
	s_delay_alu instid0(VALU_DEP_3) | instskip(NEXT) | instid1(VALU_DEP_2)
	v_cmp_ne_u32_e32 vcc_lo, 0, v0
	v_cndmask_b32_e32 v5, v5, v4, vcc_lo
.LBB0_8:
	s_and_not1_saveexec_b32 s2, s3
	s_cbranch_execz .LBB0_10
; %bb.9:
	v_cvt_f32_u32_e32 v0, s8
	s_sub_i32 s3, 0, s8
	s_delay_alu instid0(VALU_DEP_1) | instskip(SKIP_2) | instid1(VALU_DEP_1)
	v_rcp_iflag_f32_e32 v0, v0
	s_waitcnt_depctr 0xfff
	v_mul_f32_e32 v0, 0x4f7ffffe, v0
	v_cvt_u32_f32_e32 v0, v0
	s_delay_alu instid0(VALU_DEP_1) | instskip(NEXT) | instid1(VALU_DEP_1)
	v_mul_lo_u32 v4, s3, v0
	v_mul_hi_u32 v4, v0, v4
	s_delay_alu instid0(VALU_DEP_1) | instskip(NEXT) | instid1(VALU_DEP_1)
	v_add_nc_u32_e32 v0, v0, v4
	v_mul_hi_u32 v0, v3, v0
	s_delay_alu instid0(VALU_DEP_1) | instskip(NEXT) | instid1(VALU_DEP_1)
	v_mul_lo_u32 v0, v0, s8
	v_sub_nc_u32_e32 v0, v3, v0
	s_delay_alu instid0(VALU_DEP_1) | instskip(SKIP_1) | instid1(VALU_DEP_2)
	v_subrev_nc_u32_e32 v4, s8, v0
	v_cmp_le_u32_e32 vcc_lo, s8, v0
	v_cndmask_b32_e32 v0, v0, v4, vcc_lo
	s_delay_alu instid0(VALU_DEP_1) | instskip(SKIP_1) | instid1(VALU_DEP_2)
	v_subrev_nc_u32_e32 v4, s8, v0
	v_cmp_le_u32_e32 vcc_lo, s8, v0
	v_cndmask_b32_e32 v5, v0, v4, vcc_lo
.LBB0_10:
	s_or_b32 exec_lo, exec_lo, s2
	s_load_b32 s0, s[0:1], 0x30
	v_mul_lo_u32 v0, v3, s16
	v_lshlrev_b64 v[6:7], 3, v[1:2]
	s_bfe_i64 s[2:3], s[12:13], 0x200000
	s_mul_i32 s1, s10, s8
	s_lshl_b64 s[2:3], s[2:3], 3
	s_mov_b64 s[8:9], 0
	s_delay_alu instid0(VALU_DEP_1) | instskip(NEXT) | instid1(VALU_DEP_3)
	v_add_co_u32 v2, vcc_lo, s18, v6
	v_sub_nc_u32_e32 v0, v1, v0
	s_delay_alu instid0(VALU_DEP_1) | instskip(SKIP_1) | instid1(VALU_DEP_1)
	v_cvt_f32_i32_e32 v0, v0
	s_waitcnt lgkmcnt(0)
	v_mul_f32_e32 v0, s0, v0
	s_add_i32 s0, s10, -1
	s_delay_alu instid0(VALU_DEP_1) | instskip(NEXT) | instid1(VALU_DEP_1)
	v_floor_f32_e32 v0, v0
	v_cvt_i32_f32_e32 v0, v0
	s_delay_alu instid0(VALU_DEP_1) | instskip(NEXT) | instid1(VALU_DEP_1)
	v_min_i32_e32 v3, s0, v0
	v_mad_u64_u32 v[0:1], null, v5, s10, v[3:4]
	v_add_co_ci_u32_e32 v3, vcc_lo, s19, v7, vcc_lo
	.p2align	6
.LBB0_11:                               ; =>This Inner Loop Header: Depth=1
	s_delay_alu instid0(VALU_DEP_2) | instskip(SKIP_2) | instid1(SALU_CYCLE_1)
	v_ashrrev_i32_e32 v1, 31, v0
	s_add_u32 s8, s8, 1
	s_addc_u32 s9, s9, 0
	v_cmp_lt_u64_e64 s0, s[8:9], s[6:7]
	s_delay_alu instid0(VALU_DEP_2) | instskip(SKIP_1) | instid1(VALU_DEP_2)
	v_lshlrev_b64 v[4:5], 3, v[0:1]
	v_add_nc_u32_e32 v0, s1, v0
	v_add_co_u32 v4, vcc_lo, s4, v4
	s_delay_alu instid0(VALU_DEP_3)
	v_add_co_ci_u32_e32 v5, vcc_lo, s5, v5, vcc_lo
	s_and_b32 vcc_lo, exec_lo, s0
	global_load_b64 v[4:5], v[4:5], off
	s_waitcnt vmcnt(0)
	global_store_b64 v[2:3], v[4:5], off
	v_add_co_u32 v2, s0, v2, s2
	s_delay_alu instid0(VALU_DEP_1)
	v_add_co_ci_u32_e64 v3, s0, s3, v3, s0
	s_cbranch_vccnz .LBB0_11
.LBB0_12:
	s_nop 0
	s_sendmsg sendmsg(MSG_DEALLOC_VGPRS)
	s_endpgm
	.section	.rodata,"a",@progbits
	.p2align	6, 0x0
	.amdhsa_kernel _ZN2at6native12_GLOBAL__N_128upsample_nearest1d_out_frameIdXadL_ZNS0_37nearest_neighbor_compute_source_indexEfiiEEEEvPKT_mmmmPS3_f
		.amdhsa_group_segment_fixed_size 0
		.amdhsa_private_segment_fixed_size 0
		.amdhsa_kernarg_size 312
		.amdhsa_user_sgpr_count 15
		.amdhsa_user_sgpr_dispatch_ptr 0
		.amdhsa_user_sgpr_queue_ptr 0
		.amdhsa_user_sgpr_kernarg_segment_ptr 1
		.amdhsa_user_sgpr_dispatch_id 0
		.amdhsa_user_sgpr_private_segment_size 0
		.amdhsa_wavefront_size32 1
		.amdhsa_uses_dynamic_stack 0
		.amdhsa_enable_private_segment 0
		.amdhsa_system_sgpr_workgroup_id_x 1
		.amdhsa_system_sgpr_workgroup_id_y 0
		.amdhsa_system_sgpr_workgroup_id_z 0
		.amdhsa_system_sgpr_workgroup_info 0
		.amdhsa_system_vgpr_workitem_id 0
		.amdhsa_next_free_vgpr 13
		.amdhsa_next_free_sgpr 20
		.amdhsa_reserve_vcc 1
		.amdhsa_float_round_mode_32 0
		.amdhsa_float_round_mode_16_64 0
		.amdhsa_float_denorm_mode_32 3
		.amdhsa_float_denorm_mode_16_64 3
		.amdhsa_dx10_clamp 1
		.amdhsa_ieee_mode 1
		.amdhsa_fp16_overflow 0
		.amdhsa_workgroup_processor_mode 1
		.amdhsa_memory_ordered 1
		.amdhsa_forward_progress 0
		.amdhsa_shared_vgpr_count 0
		.amdhsa_exception_fp_ieee_invalid_op 0
		.amdhsa_exception_fp_denorm_src 0
		.amdhsa_exception_fp_ieee_div_zero 0
		.amdhsa_exception_fp_ieee_overflow 0
		.amdhsa_exception_fp_ieee_underflow 0
		.amdhsa_exception_fp_ieee_inexact 0
		.amdhsa_exception_int_div_zero 0
	.end_amdhsa_kernel
	.section	.text._ZN2at6native12_GLOBAL__N_128upsample_nearest1d_out_frameIdXadL_ZNS0_37nearest_neighbor_compute_source_indexEfiiEEEEvPKT_mmmmPS3_f,"axG",@progbits,_ZN2at6native12_GLOBAL__N_128upsample_nearest1d_out_frameIdXadL_ZNS0_37nearest_neighbor_compute_source_indexEfiiEEEEvPKT_mmmmPS3_f,comdat
.Lfunc_end0:
	.size	_ZN2at6native12_GLOBAL__N_128upsample_nearest1d_out_frameIdXadL_ZNS0_37nearest_neighbor_compute_source_indexEfiiEEEEvPKT_mmmmPS3_f, .Lfunc_end0-_ZN2at6native12_GLOBAL__N_128upsample_nearest1d_out_frameIdXadL_ZNS0_37nearest_neighbor_compute_source_indexEfiiEEEEvPKT_mmmmPS3_f
                                        ; -- End function
	.section	.AMDGPU.csdata,"",@progbits
; Kernel info:
; codeLenInByte = 2112
; NumSgprs: 22
; NumVgprs: 13
; ScratchSize: 0
; MemoryBound: 0
; FloatMode: 240
; IeeeMode: 1
; LDSByteSize: 0 bytes/workgroup (compile time only)
; SGPRBlocks: 2
; VGPRBlocks: 1
; NumSGPRsForWavesPerEU: 22
; NumVGPRsForWavesPerEU: 13
; Occupancy: 16
; WaveLimiterHint : 0
; COMPUTE_PGM_RSRC2:SCRATCH_EN: 0
; COMPUTE_PGM_RSRC2:USER_SGPR: 15
; COMPUTE_PGM_RSRC2:TRAP_HANDLER: 0
; COMPUTE_PGM_RSRC2:TGID_X_EN: 1
; COMPUTE_PGM_RSRC2:TGID_Y_EN: 0
; COMPUTE_PGM_RSRC2:TGID_Z_EN: 0
; COMPUTE_PGM_RSRC2:TIDIG_COMP_CNT: 0
	.section	.text._ZN2at6native12_GLOBAL__N_128upsample_nearest1d_out_frameIfXadL_ZNS0_37nearest_neighbor_compute_source_indexEfiiEEEEvPKT_mmmmPS3_f,"axG",@progbits,_ZN2at6native12_GLOBAL__N_128upsample_nearest1d_out_frameIfXadL_ZNS0_37nearest_neighbor_compute_source_indexEfiiEEEEvPKT_mmmmPS3_f,comdat
	.globl	_ZN2at6native12_GLOBAL__N_128upsample_nearest1d_out_frameIfXadL_ZNS0_37nearest_neighbor_compute_source_indexEfiiEEEEvPKT_mmmmPS3_f ; -- Begin function _ZN2at6native12_GLOBAL__N_128upsample_nearest1d_out_frameIfXadL_ZNS0_37nearest_neighbor_compute_source_indexEfiiEEEEvPKT_mmmmPS3_f
	.p2align	8
	.type	_ZN2at6native12_GLOBAL__N_128upsample_nearest1d_out_frameIfXadL_ZNS0_37nearest_neighbor_compute_source_indexEfiiEEEEvPKT_mmmmPS3_f,@function
_ZN2at6native12_GLOBAL__N_128upsample_nearest1d_out_frameIfXadL_ZNS0_37nearest_neighbor_compute_source_indexEfiiEEEEvPKT_mmmmPS3_f: ; @_ZN2at6native12_GLOBAL__N_128upsample_nearest1d_out_frameIfXadL_ZNS0_37nearest_neighbor_compute_source_indexEfiiEEEEvPKT_mmmmPS3_f
; %bb.0:
	s_clause 0x2
	s_load_b32 s2, s[0:1], 0x44
	s_load_b128 s[16:19], s[0:1], 0x20
	s_load_b256 s[4:11], s[0:1], 0x0
	s_waitcnt lgkmcnt(0)
	s_and_b32 s2, s2, 0xffff
	s_delay_alu instid0(SALU_CYCLE_1)
	v_mad_u64_u32 v[1:2], null, s15, s2, v[0:1]
	s_mul_i32 s2, s16, s9
	s_mul_hi_u32 s3, s16, s8
	s_mul_i32 s12, s16, s8
	s_add_i32 s2, s3, s2
	s_mul_i32 s3, s17, s8
	s_delay_alu instid0(SALU_CYCLE_1) | instskip(NEXT) | instid1(VALU_DEP_1)
	s_add_i32 s13, s2, s3
	v_ashrrev_i32_e32 v2, 31, v1
	s_mov_b32 s2, exec_lo
	s_delay_alu instid0(VALU_DEP_1)
	v_cmpx_gt_u64_e64 s[12:13], v[1:2]
	s_cbranch_execz .LBB1_12
; %bb.1:
	s_cmp_eq_u64 s[6:7], 0
	s_cbranch_scc1 .LBB1_12
; %bb.2:
	v_or_b32_e32 v4, s17, v2
	v_mov_b32_e32 v3, 0
	s_delay_alu instid0(VALU_DEP_1) | instskip(SKIP_1) | instid1(SALU_CYCLE_1)
	v_cmp_ne_u64_e32 vcc_lo, 0, v[3:4]
                                        ; implicit-def: $vgpr3_vgpr4
	s_and_saveexec_b32 s2, vcc_lo
	s_xor_b32 s3, exec_lo, s2
	s_cbranch_execz .LBB1_4
; %bb.3:
	v_cvt_f32_u32_e32 v0, s16
	v_cvt_f32_u32_e32 v3, s17
	s_sub_u32 s2, 0, s16
	s_subb_u32 s11, 0, s17
	s_delay_alu instid0(VALU_DEP_1) | instskip(NEXT) | instid1(VALU_DEP_1)
	v_fmamk_f32 v0, v3, 0x4f800000, v0
	v_rcp_f32_e32 v0, v0
	s_waitcnt_depctr 0xfff
	v_mul_f32_e32 v0, 0x5f7ffffc, v0
	s_delay_alu instid0(VALU_DEP_1) | instskip(NEXT) | instid1(VALU_DEP_1)
	v_mul_f32_e32 v3, 0x2f800000, v0
	v_trunc_f32_e32 v3, v3
	s_delay_alu instid0(VALU_DEP_1) | instskip(SKIP_1) | instid1(VALU_DEP_2)
	v_fmamk_f32 v0, v3, 0xcf800000, v0
	v_cvt_u32_f32_e32 v3, v3
	v_cvt_u32_f32_e32 v0, v0
	s_delay_alu instid0(VALU_DEP_2) | instskip(NEXT) | instid1(VALU_DEP_2)
	v_mul_lo_u32 v4, s2, v3
	v_mul_hi_u32 v5, s2, v0
	v_mul_lo_u32 v6, s11, v0
	s_delay_alu instid0(VALU_DEP_2) | instskip(SKIP_1) | instid1(VALU_DEP_2)
	v_add_nc_u32_e32 v4, v5, v4
	v_mul_lo_u32 v5, s2, v0
	v_add_nc_u32_e32 v4, v4, v6
	s_delay_alu instid0(VALU_DEP_2) | instskip(NEXT) | instid1(VALU_DEP_2)
	v_mul_hi_u32 v6, v0, v5
	v_mul_lo_u32 v7, v0, v4
	v_mul_hi_u32 v8, v0, v4
	v_mul_hi_u32 v9, v3, v5
	v_mul_lo_u32 v5, v3, v5
	v_mul_hi_u32 v10, v3, v4
	v_mul_lo_u32 v4, v3, v4
	v_add_co_u32 v6, vcc_lo, v6, v7
	v_add_co_ci_u32_e32 v7, vcc_lo, 0, v8, vcc_lo
	s_delay_alu instid0(VALU_DEP_2) | instskip(NEXT) | instid1(VALU_DEP_2)
	v_add_co_u32 v5, vcc_lo, v6, v5
	v_add_co_ci_u32_e32 v5, vcc_lo, v7, v9, vcc_lo
	v_add_co_ci_u32_e32 v6, vcc_lo, 0, v10, vcc_lo
	s_delay_alu instid0(VALU_DEP_2) | instskip(NEXT) | instid1(VALU_DEP_2)
	v_add_co_u32 v4, vcc_lo, v5, v4
	v_add_co_ci_u32_e32 v5, vcc_lo, 0, v6, vcc_lo
	s_delay_alu instid0(VALU_DEP_2) | instskip(NEXT) | instid1(VALU_DEP_2)
	v_add_co_u32 v0, vcc_lo, v0, v4
	v_add_co_ci_u32_e32 v3, vcc_lo, v3, v5, vcc_lo
	s_delay_alu instid0(VALU_DEP_2) | instskip(SKIP_1) | instid1(VALU_DEP_3)
	v_mul_hi_u32 v4, s2, v0
	v_mul_lo_u32 v6, s11, v0
	v_mul_lo_u32 v5, s2, v3
	s_delay_alu instid0(VALU_DEP_1) | instskip(SKIP_1) | instid1(VALU_DEP_2)
	v_add_nc_u32_e32 v4, v4, v5
	v_mul_lo_u32 v5, s2, v0
	v_add_nc_u32_e32 v4, v4, v6
	s_delay_alu instid0(VALU_DEP_2) | instskip(NEXT) | instid1(VALU_DEP_2)
	v_mul_hi_u32 v6, v0, v5
	v_mul_lo_u32 v7, v0, v4
	v_mul_hi_u32 v8, v0, v4
	v_mul_hi_u32 v9, v3, v5
	v_mul_lo_u32 v5, v3, v5
	v_mul_hi_u32 v10, v3, v4
	v_mul_lo_u32 v4, v3, v4
	v_add_co_u32 v6, vcc_lo, v6, v7
	v_add_co_ci_u32_e32 v7, vcc_lo, 0, v8, vcc_lo
	s_delay_alu instid0(VALU_DEP_2) | instskip(NEXT) | instid1(VALU_DEP_2)
	v_add_co_u32 v5, vcc_lo, v6, v5
	v_add_co_ci_u32_e32 v5, vcc_lo, v7, v9, vcc_lo
	v_add_co_ci_u32_e32 v6, vcc_lo, 0, v10, vcc_lo
	s_delay_alu instid0(VALU_DEP_2) | instskip(NEXT) | instid1(VALU_DEP_2)
	v_add_co_u32 v4, vcc_lo, v5, v4
	v_add_co_ci_u32_e32 v5, vcc_lo, 0, v6, vcc_lo
	s_delay_alu instid0(VALU_DEP_2) | instskip(NEXT) | instid1(VALU_DEP_2)
	v_add_co_u32 v0, vcc_lo, v0, v4
	v_add_co_ci_u32_e32 v9, vcc_lo, v3, v5, vcc_lo
	s_delay_alu instid0(VALU_DEP_2) | instskip(SKIP_1) | instid1(VALU_DEP_3)
	v_mul_hi_u32 v10, v1, v0
	v_mad_u64_u32 v[5:6], null, v2, v0, 0
	v_mad_u64_u32 v[3:4], null, v1, v9, 0
	;; [unrolled: 1-line block ×3, first 2 shown]
	s_delay_alu instid0(VALU_DEP_2) | instskip(NEXT) | instid1(VALU_DEP_3)
	v_add_co_u32 v0, vcc_lo, v10, v3
	v_add_co_ci_u32_e32 v3, vcc_lo, 0, v4, vcc_lo
	s_delay_alu instid0(VALU_DEP_2) | instskip(NEXT) | instid1(VALU_DEP_2)
	v_add_co_u32 v0, vcc_lo, v0, v5
	v_add_co_ci_u32_e32 v0, vcc_lo, v3, v6, vcc_lo
	v_add_co_ci_u32_e32 v3, vcc_lo, 0, v8, vcc_lo
	s_delay_alu instid0(VALU_DEP_2) | instskip(NEXT) | instid1(VALU_DEP_2)
	v_add_co_u32 v0, vcc_lo, v0, v7
	v_add_co_ci_u32_e32 v5, vcc_lo, 0, v3, vcc_lo
	s_delay_alu instid0(VALU_DEP_2) | instskip(SKIP_1) | instid1(VALU_DEP_3)
	v_mul_lo_u32 v6, s17, v0
	v_mad_u64_u32 v[3:4], null, s16, v0, 0
	v_mul_lo_u32 v7, s16, v5
	s_delay_alu instid0(VALU_DEP_2) | instskip(NEXT) | instid1(VALU_DEP_2)
	v_sub_co_u32 v3, vcc_lo, v1, v3
	v_add3_u32 v4, v4, v7, v6
	s_delay_alu instid0(VALU_DEP_1) | instskip(NEXT) | instid1(VALU_DEP_1)
	v_sub_nc_u32_e32 v6, v2, v4
	v_subrev_co_ci_u32_e64 v6, s2, s17, v6, vcc_lo
	v_add_co_u32 v7, s2, v0, 2
	s_delay_alu instid0(VALU_DEP_1) | instskip(SKIP_3) | instid1(VALU_DEP_3)
	v_add_co_ci_u32_e64 v8, s2, 0, v5, s2
	v_sub_co_u32 v9, s2, v3, s16
	v_sub_co_ci_u32_e32 v4, vcc_lo, v2, v4, vcc_lo
	v_subrev_co_ci_u32_e64 v6, s2, 0, v6, s2
	v_cmp_le_u32_e32 vcc_lo, s16, v9
	s_delay_alu instid0(VALU_DEP_3) | instskip(SKIP_1) | instid1(VALU_DEP_4)
	v_cmp_eq_u32_e64 s2, s17, v4
	v_cndmask_b32_e64 v9, 0, -1, vcc_lo
	v_cmp_le_u32_e32 vcc_lo, s17, v6
	v_cndmask_b32_e64 v10, 0, -1, vcc_lo
	v_cmp_le_u32_e32 vcc_lo, s16, v3
	;; [unrolled: 2-line block ×3, first 2 shown]
	v_cndmask_b32_e64 v11, 0, -1, vcc_lo
	v_cmp_eq_u32_e32 vcc_lo, s17, v6
	s_delay_alu instid0(VALU_DEP_2) | instskip(SKIP_3) | instid1(VALU_DEP_3)
	v_cndmask_b32_e64 v3, v11, v3, s2
	v_cndmask_b32_e32 v6, v10, v9, vcc_lo
	v_add_co_u32 v9, vcc_lo, v0, 1
	v_add_co_ci_u32_e32 v10, vcc_lo, 0, v5, vcc_lo
	v_cmp_ne_u32_e32 vcc_lo, 0, v6
	s_delay_alu instid0(VALU_DEP_2) | instskip(NEXT) | instid1(VALU_DEP_4)
	v_cndmask_b32_e32 v4, v10, v8, vcc_lo
	v_cndmask_b32_e32 v6, v9, v7, vcc_lo
	v_cmp_ne_u32_e32 vcc_lo, 0, v3
	s_delay_alu instid0(VALU_DEP_2)
	v_dual_cndmask_b32 v3, v0, v6 :: v_dual_cndmask_b32 v4, v5, v4
.LBB1_4:
	s_and_not1_saveexec_b32 s2, s3
	s_cbranch_execz .LBB1_6
; %bb.5:
	v_cvt_f32_u32_e32 v0, s16
	s_sub_i32 s3, 0, s16
	s_delay_alu instid0(VALU_DEP_1) | instskip(SKIP_2) | instid1(VALU_DEP_1)
	v_rcp_iflag_f32_e32 v0, v0
	s_waitcnt_depctr 0xfff
	v_mul_f32_e32 v0, 0x4f7ffffe, v0
	v_cvt_u32_f32_e32 v0, v0
	s_delay_alu instid0(VALU_DEP_1) | instskip(NEXT) | instid1(VALU_DEP_1)
	v_mul_lo_u32 v3, s3, v0
	v_mul_hi_u32 v3, v0, v3
	s_delay_alu instid0(VALU_DEP_1) | instskip(NEXT) | instid1(VALU_DEP_1)
	v_add_nc_u32_e32 v0, v0, v3
	v_mul_hi_u32 v0, v1, v0
	s_delay_alu instid0(VALU_DEP_1) | instskip(SKIP_1) | instid1(VALU_DEP_2)
	v_mul_lo_u32 v3, v0, s16
	v_add_nc_u32_e32 v4, 1, v0
	v_sub_nc_u32_e32 v3, v1, v3
	s_delay_alu instid0(VALU_DEP_1) | instskip(SKIP_1) | instid1(VALU_DEP_2)
	v_subrev_nc_u32_e32 v5, s16, v3
	v_cmp_le_u32_e32 vcc_lo, s16, v3
	v_dual_cndmask_b32 v3, v3, v5 :: v_dual_cndmask_b32 v0, v0, v4
	s_delay_alu instid0(VALU_DEP_1) | instskip(NEXT) | instid1(VALU_DEP_2)
	v_cmp_le_u32_e32 vcc_lo, s16, v3
	v_add_nc_u32_e32 v4, 1, v0
	s_delay_alu instid0(VALU_DEP_1)
	v_dual_cndmask_b32 v3, v0, v4 :: v_dual_mov_b32 v4, 0
.LBB1_6:
	s_or_b32 exec_lo, exec_lo, s2
	s_delay_alu instid0(VALU_DEP_1) | instskip(SKIP_1) | instid1(VALU_DEP_1)
	v_or_b32_e32 v6, s9, v4
	v_mov_b32_e32 v5, 0
	v_cmp_ne_u64_e32 vcc_lo, 0, v[5:6]
                                        ; implicit-def: $vgpr5_vgpr6
	s_and_saveexec_b32 s2, vcc_lo
	s_delay_alu instid0(SALU_CYCLE_1)
	s_xor_b32 s3, exec_lo, s2
	s_cbranch_execz .LBB1_8
; %bb.7:
	v_cvt_f32_u32_e32 v0, s8
	v_cvt_f32_u32_e32 v5, s9
	s_sub_u32 s2, 0, s8
	s_subb_u32 s11, 0, s9
	s_delay_alu instid0(VALU_DEP_1) | instskip(NEXT) | instid1(VALU_DEP_1)
	v_fmamk_f32 v0, v5, 0x4f800000, v0
	v_rcp_f32_e32 v0, v0
	s_waitcnt_depctr 0xfff
	v_mul_f32_e32 v0, 0x5f7ffffc, v0
	s_delay_alu instid0(VALU_DEP_1) | instskip(NEXT) | instid1(VALU_DEP_1)
	v_mul_f32_e32 v5, 0x2f800000, v0
	v_trunc_f32_e32 v5, v5
	s_delay_alu instid0(VALU_DEP_1) | instskip(SKIP_1) | instid1(VALU_DEP_2)
	v_fmamk_f32 v0, v5, 0xcf800000, v0
	v_cvt_u32_f32_e32 v5, v5
	v_cvt_u32_f32_e32 v0, v0
	s_delay_alu instid0(VALU_DEP_2) | instskip(NEXT) | instid1(VALU_DEP_2)
	v_mul_lo_u32 v6, s2, v5
	v_mul_hi_u32 v7, s2, v0
	v_mul_lo_u32 v8, s11, v0
	s_delay_alu instid0(VALU_DEP_2) | instskip(SKIP_1) | instid1(VALU_DEP_2)
	v_add_nc_u32_e32 v6, v7, v6
	v_mul_lo_u32 v7, s2, v0
	v_add_nc_u32_e32 v6, v6, v8
	s_delay_alu instid0(VALU_DEP_2) | instskip(NEXT) | instid1(VALU_DEP_2)
	v_mul_hi_u32 v8, v0, v7
	v_mul_lo_u32 v9, v0, v6
	v_mul_hi_u32 v10, v0, v6
	v_mul_hi_u32 v11, v5, v7
	v_mul_lo_u32 v7, v5, v7
	v_mul_hi_u32 v12, v5, v6
	v_mul_lo_u32 v6, v5, v6
	v_add_co_u32 v8, vcc_lo, v8, v9
	v_add_co_ci_u32_e32 v9, vcc_lo, 0, v10, vcc_lo
	s_delay_alu instid0(VALU_DEP_2) | instskip(NEXT) | instid1(VALU_DEP_2)
	v_add_co_u32 v7, vcc_lo, v8, v7
	v_add_co_ci_u32_e32 v7, vcc_lo, v9, v11, vcc_lo
	v_add_co_ci_u32_e32 v8, vcc_lo, 0, v12, vcc_lo
	s_delay_alu instid0(VALU_DEP_2) | instskip(NEXT) | instid1(VALU_DEP_2)
	v_add_co_u32 v6, vcc_lo, v7, v6
	v_add_co_ci_u32_e32 v7, vcc_lo, 0, v8, vcc_lo
	s_delay_alu instid0(VALU_DEP_2) | instskip(NEXT) | instid1(VALU_DEP_2)
	v_add_co_u32 v0, vcc_lo, v0, v6
	v_add_co_ci_u32_e32 v5, vcc_lo, v5, v7, vcc_lo
	s_delay_alu instid0(VALU_DEP_2) | instskip(SKIP_1) | instid1(VALU_DEP_3)
	v_mul_hi_u32 v6, s2, v0
	v_mul_lo_u32 v8, s11, v0
	v_mul_lo_u32 v7, s2, v5
	s_delay_alu instid0(VALU_DEP_1) | instskip(SKIP_1) | instid1(VALU_DEP_2)
	v_add_nc_u32_e32 v6, v6, v7
	v_mul_lo_u32 v7, s2, v0
	v_add_nc_u32_e32 v6, v6, v8
	s_delay_alu instid0(VALU_DEP_2) | instskip(NEXT) | instid1(VALU_DEP_2)
	v_mul_hi_u32 v8, v0, v7
	v_mul_lo_u32 v9, v0, v6
	v_mul_hi_u32 v10, v0, v6
	v_mul_hi_u32 v11, v5, v7
	v_mul_lo_u32 v7, v5, v7
	v_mul_hi_u32 v12, v5, v6
	v_mul_lo_u32 v6, v5, v6
	v_add_co_u32 v8, vcc_lo, v8, v9
	v_add_co_ci_u32_e32 v9, vcc_lo, 0, v10, vcc_lo
	s_delay_alu instid0(VALU_DEP_2) | instskip(NEXT) | instid1(VALU_DEP_2)
	v_add_co_u32 v7, vcc_lo, v8, v7
	v_add_co_ci_u32_e32 v7, vcc_lo, v9, v11, vcc_lo
	v_add_co_ci_u32_e32 v8, vcc_lo, 0, v12, vcc_lo
	s_delay_alu instid0(VALU_DEP_2) | instskip(NEXT) | instid1(VALU_DEP_2)
	v_add_co_u32 v6, vcc_lo, v7, v6
	v_add_co_ci_u32_e32 v7, vcc_lo, 0, v8, vcc_lo
	s_delay_alu instid0(VALU_DEP_2) | instskip(NEXT) | instid1(VALU_DEP_2)
	v_add_co_u32 v0, vcc_lo, v0, v6
	v_add_co_ci_u32_e32 v11, vcc_lo, v5, v7, vcc_lo
	s_delay_alu instid0(VALU_DEP_2) | instskip(SKIP_1) | instid1(VALU_DEP_3)
	v_mul_hi_u32 v12, v3, v0
	v_mad_u64_u32 v[7:8], null, v4, v0, 0
	v_mad_u64_u32 v[5:6], null, v3, v11, 0
	;; [unrolled: 1-line block ×3, first 2 shown]
	s_delay_alu instid0(VALU_DEP_2) | instskip(NEXT) | instid1(VALU_DEP_3)
	v_add_co_u32 v0, vcc_lo, v12, v5
	v_add_co_ci_u32_e32 v5, vcc_lo, 0, v6, vcc_lo
	s_delay_alu instid0(VALU_DEP_2) | instskip(NEXT) | instid1(VALU_DEP_2)
	v_add_co_u32 v0, vcc_lo, v0, v7
	v_add_co_ci_u32_e32 v0, vcc_lo, v5, v8, vcc_lo
	v_add_co_ci_u32_e32 v5, vcc_lo, 0, v10, vcc_lo
	s_delay_alu instid0(VALU_DEP_2) | instskip(NEXT) | instid1(VALU_DEP_2)
	v_add_co_u32 v0, vcc_lo, v0, v9
	v_add_co_ci_u32_e32 v7, vcc_lo, 0, v5, vcc_lo
	s_delay_alu instid0(VALU_DEP_2) | instskip(SKIP_1) | instid1(VALU_DEP_3)
	v_mul_lo_u32 v8, s9, v0
	v_mad_u64_u32 v[5:6], null, s8, v0, 0
	v_mul_lo_u32 v0, s8, v7
	s_delay_alu instid0(VALU_DEP_2) | instskip(NEXT) | instid1(VALU_DEP_2)
	v_sub_co_u32 v5, vcc_lo, v3, v5
	v_add3_u32 v0, v6, v0, v8
	s_delay_alu instid0(VALU_DEP_1) | instskip(NEXT) | instid1(VALU_DEP_1)
	v_sub_nc_u32_e32 v6, v4, v0
	v_subrev_co_ci_u32_e64 v6, s2, s9, v6, vcc_lo
	s_delay_alu instid0(VALU_DEP_4) | instskip(SKIP_1) | instid1(VALU_DEP_3)
	v_sub_co_u32 v7, s2, v5, s8
	v_sub_co_ci_u32_e32 v0, vcc_lo, v4, v0, vcc_lo
	v_subrev_co_ci_u32_e64 v6, s2, 0, v6, s2
	s_delay_alu instid0(VALU_DEP_3) | instskip(SKIP_1) | instid1(VALU_DEP_3)
	v_cmp_le_u32_e32 vcc_lo, s8, v7
	v_cndmask_b32_e64 v4, 0, -1, vcc_lo
	v_cmp_le_u32_e32 vcc_lo, s9, v6
	v_cndmask_b32_e64 v8, 0, -1, vcc_lo
	;; [unrolled: 2-line block ×4, first 2 shown]
	v_cmp_eq_u32_e32 vcc_lo, s9, v6
	v_cndmask_b32_e32 v4, v8, v4, vcc_lo
	v_sub_co_u32 v6, vcc_lo, v7, s8
	v_cmp_eq_u32_e32 vcc_lo, s9, v0
	v_cndmask_b32_e32 v0, v10, v9, vcc_lo
	s_delay_alu instid0(VALU_DEP_4) | instskip(NEXT) | instid1(VALU_DEP_4)
	v_cmp_ne_u32_e32 vcc_lo, 0, v4
	v_cndmask_b32_e32 v4, v7, v6, vcc_lo
	s_delay_alu instid0(VALU_DEP_3) | instskip(NEXT) | instid1(VALU_DEP_2)
	v_cmp_ne_u32_e32 vcc_lo, 0, v0
	v_cndmask_b32_e32 v5, v5, v4, vcc_lo
.LBB1_8:
	s_and_not1_saveexec_b32 s2, s3
	s_cbranch_execz .LBB1_10
; %bb.9:
	v_cvt_f32_u32_e32 v0, s8
	s_sub_i32 s3, 0, s8
	s_delay_alu instid0(VALU_DEP_1) | instskip(SKIP_2) | instid1(VALU_DEP_1)
	v_rcp_iflag_f32_e32 v0, v0
	s_waitcnt_depctr 0xfff
	v_mul_f32_e32 v0, 0x4f7ffffe, v0
	v_cvt_u32_f32_e32 v0, v0
	s_delay_alu instid0(VALU_DEP_1) | instskip(NEXT) | instid1(VALU_DEP_1)
	v_mul_lo_u32 v4, s3, v0
	v_mul_hi_u32 v4, v0, v4
	s_delay_alu instid0(VALU_DEP_1) | instskip(NEXT) | instid1(VALU_DEP_1)
	v_add_nc_u32_e32 v0, v0, v4
	v_mul_hi_u32 v0, v3, v0
	s_delay_alu instid0(VALU_DEP_1) | instskip(NEXT) | instid1(VALU_DEP_1)
	v_mul_lo_u32 v0, v0, s8
	v_sub_nc_u32_e32 v0, v3, v0
	s_delay_alu instid0(VALU_DEP_1) | instskip(SKIP_1) | instid1(VALU_DEP_2)
	v_subrev_nc_u32_e32 v4, s8, v0
	v_cmp_le_u32_e32 vcc_lo, s8, v0
	v_cndmask_b32_e32 v0, v0, v4, vcc_lo
	s_delay_alu instid0(VALU_DEP_1) | instskip(SKIP_1) | instid1(VALU_DEP_2)
	v_subrev_nc_u32_e32 v4, s8, v0
	v_cmp_le_u32_e32 vcc_lo, s8, v0
	v_cndmask_b32_e32 v5, v0, v4, vcc_lo
.LBB1_10:
	s_or_b32 exec_lo, exec_lo, s2
	s_load_b32 s0, s[0:1], 0x30
	v_mul_lo_u32 v0, v3, s16
	v_lshlrev_b64 v[6:7], 2, v[1:2]
	s_bfe_i64 s[2:3], s[12:13], 0x200000
	s_mul_i32 s1, s10, s8
	s_lshl_b64 s[2:3], s[2:3], 2
	s_mov_b64 s[8:9], 0
	s_delay_alu instid0(VALU_DEP_1) | instskip(NEXT) | instid1(VALU_DEP_3)
	v_add_co_u32 v2, vcc_lo, s18, v6
	v_sub_nc_u32_e32 v0, v1, v0
	s_delay_alu instid0(VALU_DEP_1) | instskip(SKIP_1) | instid1(VALU_DEP_1)
	v_cvt_f32_i32_e32 v0, v0
	s_waitcnt lgkmcnt(0)
	v_mul_f32_e32 v0, s0, v0
	s_add_i32 s0, s10, -1
	s_delay_alu instid0(VALU_DEP_1) | instskip(NEXT) | instid1(VALU_DEP_1)
	v_floor_f32_e32 v0, v0
	v_cvt_i32_f32_e32 v0, v0
	s_delay_alu instid0(VALU_DEP_1) | instskip(NEXT) | instid1(VALU_DEP_1)
	v_min_i32_e32 v3, s0, v0
	v_mad_u64_u32 v[0:1], null, v5, s10, v[3:4]
	v_add_co_ci_u32_e32 v3, vcc_lo, s19, v7, vcc_lo
	.p2align	6
.LBB1_11:                               ; =>This Inner Loop Header: Depth=1
	s_delay_alu instid0(VALU_DEP_2) | instskip(SKIP_2) | instid1(SALU_CYCLE_1)
	v_ashrrev_i32_e32 v1, 31, v0
	s_add_u32 s8, s8, 1
	s_addc_u32 s9, s9, 0
	v_cmp_lt_u64_e64 s0, s[8:9], s[6:7]
	s_delay_alu instid0(VALU_DEP_2) | instskip(SKIP_1) | instid1(VALU_DEP_2)
	v_lshlrev_b64 v[4:5], 2, v[0:1]
	v_add_nc_u32_e32 v0, s1, v0
	v_add_co_u32 v4, vcc_lo, s4, v4
	s_delay_alu instid0(VALU_DEP_3)
	v_add_co_ci_u32_e32 v5, vcc_lo, s5, v5, vcc_lo
	s_and_b32 vcc_lo, exec_lo, s0
	global_load_b32 v1, v[4:5], off
	s_waitcnt vmcnt(0)
	global_store_b32 v[2:3], v1, off
	v_add_co_u32 v2, s0, v2, s2
	s_delay_alu instid0(VALU_DEP_1)
	v_add_co_ci_u32_e64 v3, s0, s3, v3, s0
	s_cbranch_vccnz .LBB1_11
.LBB1_12:
	s_nop 0
	s_sendmsg sendmsg(MSG_DEALLOC_VGPRS)
	s_endpgm
	.section	.rodata,"a",@progbits
	.p2align	6, 0x0
	.amdhsa_kernel _ZN2at6native12_GLOBAL__N_128upsample_nearest1d_out_frameIfXadL_ZNS0_37nearest_neighbor_compute_source_indexEfiiEEEEvPKT_mmmmPS3_f
		.amdhsa_group_segment_fixed_size 0
		.amdhsa_private_segment_fixed_size 0
		.amdhsa_kernarg_size 312
		.amdhsa_user_sgpr_count 15
		.amdhsa_user_sgpr_dispatch_ptr 0
		.amdhsa_user_sgpr_queue_ptr 0
		.amdhsa_user_sgpr_kernarg_segment_ptr 1
		.amdhsa_user_sgpr_dispatch_id 0
		.amdhsa_user_sgpr_private_segment_size 0
		.amdhsa_wavefront_size32 1
		.amdhsa_uses_dynamic_stack 0
		.amdhsa_enable_private_segment 0
		.amdhsa_system_sgpr_workgroup_id_x 1
		.amdhsa_system_sgpr_workgroup_id_y 0
		.amdhsa_system_sgpr_workgroup_id_z 0
		.amdhsa_system_sgpr_workgroup_info 0
		.amdhsa_system_vgpr_workitem_id 0
		.amdhsa_next_free_vgpr 13
		.amdhsa_next_free_sgpr 20
		.amdhsa_reserve_vcc 1
		.amdhsa_float_round_mode_32 0
		.amdhsa_float_round_mode_16_64 0
		.amdhsa_float_denorm_mode_32 3
		.amdhsa_float_denorm_mode_16_64 3
		.amdhsa_dx10_clamp 1
		.amdhsa_ieee_mode 1
		.amdhsa_fp16_overflow 0
		.amdhsa_workgroup_processor_mode 1
		.amdhsa_memory_ordered 1
		.amdhsa_forward_progress 0
		.amdhsa_shared_vgpr_count 0
		.amdhsa_exception_fp_ieee_invalid_op 0
		.amdhsa_exception_fp_denorm_src 0
		.amdhsa_exception_fp_ieee_div_zero 0
		.amdhsa_exception_fp_ieee_overflow 0
		.amdhsa_exception_fp_ieee_underflow 0
		.amdhsa_exception_fp_ieee_inexact 0
		.amdhsa_exception_int_div_zero 0
	.end_amdhsa_kernel
	.section	.text._ZN2at6native12_GLOBAL__N_128upsample_nearest1d_out_frameIfXadL_ZNS0_37nearest_neighbor_compute_source_indexEfiiEEEEvPKT_mmmmPS3_f,"axG",@progbits,_ZN2at6native12_GLOBAL__N_128upsample_nearest1d_out_frameIfXadL_ZNS0_37nearest_neighbor_compute_source_indexEfiiEEEEvPKT_mmmmPS3_f,comdat
.Lfunc_end1:
	.size	_ZN2at6native12_GLOBAL__N_128upsample_nearest1d_out_frameIfXadL_ZNS0_37nearest_neighbor_compute_source_indexEfiiEEEEvPKT_mmmmPS3_f, .Lfunc_end1-_ZN2at6native12_GLOBAL__N_128upsample_nearest1d_out_frameIfXadL_ZNS0_37nearest_neighbor_compute_source_indexEfiiEEEEvPKT_mmmmPS3_f
                                        ; -- End function
	.section	.AMDGPU.csdata,"",@progbits
; Kernel info:
; codeLenInByte = 2112
; NumSgprs: 22
; NumVgprs: 13
; ScratchSize: 0
; MemoryBound: 0
; FloatMode: 240
; IeeeMode: 1
; LDSByteSize: 0 bytes/workgroup (compile time only)
; SGPRBlocks: 2
; VGPRBlocks: 1
; NumSGPRsForWavesPerEU: 22
; NumVGPRsForWavesPerEU: 13
; Occupancy: 16
; WaveLimiterHint : 0
; COMPUTE_PGM_RSRC2:SCRATCH_EN: 0
; COMPUTE_PGM_RSRC2:USER_SGPR: 15
; COMPUTE_PGM_RSRC2:TRAP_HANDLER: 0
; COMPUTE_PGM_RSRC2:TGID_X_EN: 1
; COMPUTE_PGM_RSRC2:TGID_Y_EN: 0
; COMPUTE_PGM_RSRC2:TGID_Z_EN: 0
; COMPUTE_PGM_RSRC2:TIDIG_COMP_CNT: 0
	.section	.text._ZN2at6native12_GLOBAL__N_128upsample_nearest1d_out_frameIN3c104HalfEXadL_ZNS0_37nearest_neighbor_compute_source_indexEfiiEEEEvPKT_mmmmPS5_f,"axG",@progbits,_ZN2at6native12_GLOBAL__N_128upsample_nearest1d_out_frameIN3c104HalfEXadL_ZNS0_37nearest_neighbor_compute_source_indexEfiiEEEEvPKT_mmmmPS5_f,comdat
	.globl	_ZN2at6native12_GLOBAL__N_128upsample_nearest1d_out_frameIN3c104HalfEXadL_ZNS0_37nearest_neighbor_compute_source_indexEfiiEEEEvPKT_mmmmPS5_f ; -- Begin function _ZN2at6native12_GLOBAL__N_128upsample_nearest1d_out_frameIN3c104HalfEXadL_ZNS0_37nearest_neighbor_compute_source_indexEfiiEEEEvPKT_mmmmPS5_f
	.p2align	8
	.type	_ZN2at6native12_GLOBAL__N_128upsample_nearest1d_out_frameIN3c104HalfEXadL_ZNS0_37nearest_neighbor_compute_source_indexEfiiEEEEvPKT_mmmmPS5_f,@function
_ZN2at6native12_GLOBAL__N_128upsample_nearest1d_out_frameIN3c104HalfEXadL_ZNS0_37nearest_neighbor_compute_source_indexEfiiEEEEvPKT_mmmmPS5_f: ; @_ZN2at6native12_GLOBAL__N_128upsample_nearest1d_out_frameIN3c104HalfEXadL_ZNS0_37nearest_neighbor_compute_source_indexEfiiEEEEvPKT_mmmmPS5_f
; %bb.0:
	s_clause 0x2
	s_load_b32 s2, s[0:1], 0x44
	s_load_b128 s[16:19], s[0:1], 0x20
	s_load_b256 s[4:11], s[0:1], 0x0
	s_waitcnt lgkmcnt(0)
	s_and_b32 s2, s2, 0xffff
	s_delay_alu instid0(SALU_CYCLE_1)
	v_mad_u64_u32 v[1:2], null, s15, s2, v[0:1]
	s_mul_i32 s2, s16, s9
	s_mul_hi_u32 s3, s16, s8
	s_mul_i32 s12, s16, s8
	s_add_i32 s2, s3, s2
	s_mul_i32 s3, s17, s8
	s_delay_alu instid0(SALU_CYCLE_1) | instskip(NEXT) | instid1(VALU_DEP_1)
	s_add_i32 s13, s2, s3
	v_ashrrev_i32_e32 v2, 31, v1
	s_mov_b32 s2, exec_lo
	s_delay_alu instid0(VALU_DEP_1)
	v_cmpx_gt_u64_e64 s[12:13], v[1:2]
	s_cbranch_execz .LBB2_12
; %bb.1:
	s_cmp_eq_u64 s[6:7], 0
	s_cbranch_scc1 .LBB2_12
; %bb.2:
	v_or_b32_e32 v4, s17, v2
	v_mov_b32_e32 v3, 0
	s_delay_alu instid0(VALU_DEP_1) | instskip(SKIP_1) | instid1(SALU_CYCLE_1)
	v_cmp_ne_u64_e32 vcc_lo, 0, v[3:4]
                                        ; implicit-def: $vgpr3_vgpr4
	s_and_saveexec_b32 s2, vcc_lo
	s_xor_b32 s3, exec_lo, s2
	s_cbranch_execz .LBB2_4
; %bb.3:
	v_cvt_f32_u32_e32 v0, s16
	v_cvt_f32_u32_e32 v3, s17
	s_sub_u32 s2, 0, s16
	s_subb_u32 s11, 0, s17
	s_delay_alu instid0(VALU_DEP_1) | instskip(NEXT) | instid1(VALU_DEP_1)
	v_fmamk_f32 v0, v3, 0x4f800000, v0
	v_rcp_f32_e32 v0, v0
	s_waitcnt_depctr 0xfff
	v_mul_f32_e32 v0, 0x5f7ffffc, v0
	s_delay_alu instid0(VALU_DEP_1) | instskip(NEXT) | instid1(VALU_DEP_1)
	v_mul_f32_e32 v3, 0x2f800000, v0
	v_trunc_f32_e32 v3, v3
	s_delay_alu instid0(VALU_DEP_1) | instskip(SKIP_1) | instid1(VALU_DEP_2)
	v_fmamk_f32 v0, v3, 0xcf800000, v0
	v_cvt_u32_f32_e32 v3, v3
	v_cvt_u32_f32_e32 v0, v0
	s_delay_alu instid0(VALU_DEP_2) | instskip(NEXT) | instid1(VALU_DEP_2)
	v_mul_lo_u32 v4, s2, v3
	v_mul_hi_u32 v5, s2, v0
	v_mul_lo_u32 v6, s11, v0
	s_delay_alu instid0(VALU_DEP_2) | instskip(SKIP_1) | instid1(VALU_DEP_2)
	v_add_nc_u32_e32 v4, v5, v4
	v_mul_lo_u32 v5, s2, v0
	v_add_nc_u32_e32 v4, v4, v6
	s_delay_alu instid0(VALU_DEP_2) | instskip(NEXT) | instid1(VALU_DEP_2)
	v_mul_hi_u32 v6, v0, v5
	v_mul_lo_u32 v7, v0, v4
	v_mul_hi_u32 v8, v0, v4
	v_mul_hi_u32 v9, v3, v5
	v_mul_lo_u32 v5, v3, v5
	v_mul_hi_u32 v10, v3, v4
	v_mul_lo_u32 v4, v3, v4
	v_add_co_u32 v6, vcc_lo, v6, v7
	v_add_co_ci_u32_e32 v7, vcc_lo, 0, v8, vcc_lo
	s_delay_alu instid0(VALU_DEP_2) | instskip(NEXT) | instid1(VALU_DEP_2)
	v_add_co_u32 v5, vcc_lo, v6, v5
	v_add_co_ci_u32_e32 v5, vcc_lo, v7, v9, vcc_lo
	v_add_co_ci_u32_e32 v6, vcc_lo, 0, v10, vcc_lo
	s_delay_alu instid0(VALU_DEP_2) | instskip(NEXT) | instid1(VALU_DEP_2)
	v_add_co_u32 v4, vcc_lo, v5, v4
	v_add_co_ci_u32_e32 v5, vcc_lo, 0, v6, vcc_lo
	s_delay_alu instid0(VALU_DEP_2) | instskip(NEXT) | instid1(VALU_DEP_2)
	v_add_co_u32 v0, vcc_lo, v0, v4
	v_add_co_ci_u32_e32 v3, vcc_lo, v3, v5, vcc_lo
	s_delay_alu instid0(VALU_DEP_2) | instskip(SKIP_1) | instid1(VALU_DEP_3)
	v_mul_hi_u32 v4, s2, v0
	v_mul_lo_u32 v6, s11, v0
	v_mul_lo_u32 v5, s2, v3
	s_delay_alu instid0(VALU_DEP_1) | instskip(SKIP_1) | instid1(VALU_DEP_2)
	v_add_nc_u32_e32 v4, v4, v5
	v_mul_lo_u32 v5, s2, v0
	v_add_nc_u32_e32 v4, v4, v6
	s_delay_alu instid0(VALU_DEP_2) | instskip(NEXT) | instid1(VALU_DEP_2)
	v_mul_hi_u32 v6, v0, v5
	v_mul_lo_u32 v7, v0, v4
	v_mul_hi_u32 v8, v0, v4
	v_mul_hi_u32 v9, v3, v5
	v_mul_lo_u32 v5, v3, v5
	v_mul_hi_u32 v10, v3, v4
	v_mul_lo_u32 v4, v3, v4
	v_add_co_u32 v6, vcc_lo, v6, v7
	v_add_co_ci_u32_e32 v7, vcc_lo, 0, v8, vcc_lo
	s_delay_alu instid0(VALU_DEP_2) | instskip(NEXT) | instid1(VALU_DEP_2)
	v_add_co_u32 v5, vcc_lo, v6, v5
	v_add_co_ci_u32_e32 v5, vcc_lo, v7, v9, vcc_lo
	v_add_co_ci_u32_e32 v6, vcc_lo, 0, v10, vcc_lo
	s_delay_alu instid0(VALU_DEP_2) | instskip(NEXT) | instid1(VALU_DEP_2)
	v_add_co_u32 v4, vcc_lo, v5, v4
	v_add_co_ci_u32_e32 v5, vcc_lo, 0, v6, vcc_lo
	s_delay_alu instid0(VALU_DEP_2) | instskip(NEXT) | instid1(VALU_DEP_2)
	v_add_co_u32 v0, vcc_lo, v0, v4
	v_add_co_ci_u32_e32 v9, vcc_lo, v3, v5, vcc_lo
	s_delay_alu instid0(VALU_DEP_2) | instskip(SKIP_1) | instid1(VALU_DEP_3)
	v_mul_hi_u32 v10, v1, v0
	v_mad_u64_u32 v[5:6], null, v2, v0, 0
	v_mad_u64_u32 v[3:4], null, v1, v9, 0
	;; [unrolled: 1-line block ×3, first 2 shown]
	s_delay_alu instid0(VALU_DEP_2) | instskip(NEXT) | instid1(VALU_DEP_3)
	v_add_co_u32 v0, vcc_lo, v10, v3
	v_add_co_ci_u32_e32 v3, vcc_lo, 0, v4, vcc_lo
	s_delay_alu instid0(VALU_DEP_2) | instskip(NEXT) | instid1(VALU_DEP_2)
	v_add_co_u32 v0, vcc_lo, v0, v5
	v_add_co_ci_u32_e32 v0, vcc_lo, v3, v6, vcc_lo
	v_add_co_ci_u32_e32 v3, vcc_lo, 0, v8, vcc_lo
	s_delay_alu instid0(VALU_DEP_2) | instskip(NEXT) | instid1(VALU_DEP_2)
	v_add_co_u32 v0, vcc_lo, v0, v7
	v_add_co_ci_u32_e32 v5, vcc_lo, 0, v3, vcc_lo
	s_delay_alu instid0(VALU_DEP_2) | instskip(SKIP_1) | instid1(VALU_DEP_3)
	v_mul_lo_u32 v6, s17, v0
	v_mad_u64_u32 v[3:4], null, s16, v0, 0
	v_mul_lo_u32 v7, s16, v5
	s_delay_alu instid0(VALU_DEP_2) | instskip(NEXT) | instid1(VALU_DEP_2)
	v_sub_co_u32 v3, vcc_lo, v1, v3
	v_add3_u32 v4, v4, v7, v6
	s_delay_alu instid0(VALU_DEP_1) | instskip(NEXT) | instid1(VALU_DEP_1)
	v_sub_nc_u32_e32 v6, v2, v4
	v_subrev_co_ci_u32_e64 v6, s2, s17, v6, vcc_lo
	v_add_co_u32 v7, s2, v0, 2
	s_delay_alu instid0(VALU_DEP_1) | instskip(SKIP_3) | instid1(VALU_DEP_3)
	v_add_co_ci_u32_e64 v8, s2, 0, v5, s2
	v_sub_co_u32 v9, s2, v3, s16
	v_sub_co_ci_u32_e32 v4, vcc_lo, v2, v4, vcc_lo
	v_subrev_co_ci_u32_e64 v6, s2, 0, v6, s2
	v_cmp_le_u32_e32 vcc_lo, s16, v9
	s_delay_alu instid0(VALU_DEP_3) | instskip(SKIP_1) | instid1(VALU_DEP_4)
	v_cmp_eq_u32_e64 s2, s17, v4
	v_cndmask_b32_e64 v9, 0, -1, vcc_lo
	v_cmp_le_u32_e32 vcc_lo, s17, v6
	v_cndmask_b32_e64 v10, 0, -1, vcc_lo
	v_cmp_le_u32_e32 vcc_lo, s16, v3
	;; [unrolled: 2-line block ×3, first 2 shown]
	v_cndmask_b32_e64 v11, 0, -1, vcc_lo
	v_cmp_eq_u32_e32 vcc_lo, s17, v6
	s_delay_alu instid0(VALU_DEP_2) | instskip(SKIP_3) | instid1(VALU_DEP_3)
	v_cndmask_b32_e64 v3, v11, v3, s2
	v_cndmask_b32_e32 v6, v10, v9, vcc_lo
	v_add_co_u32 v9, vcc_lo, v0, 1
	v_add_co_ci_u32_e32 v10, vcc_lo, 0, v5, vcc_lo
	v_cmp_ne_u32_e32 vcc_lo, 0, v6
	s_delay_alu instid0(VALU_DEP_2) | instskip(NEXT) | instid1(VALU_DEP_4)
	v_cndmask_b32_e32 v4, v10, v8, vcc_lo
	v_cndmask_b32_e32 v6, v9, v7, vcc_lo
	v_cmp_ne_u32_e32 vcc_lo, 0, v3
	s_delay_alu instid0(VALU_DEP_2)
	v_dual_cndmask_b32 v3, v0, v6 :: v_dual_cndmask_b32 v4, v5, v4
.LBB2_4:
	s_and_not1_saveexec_b32 s2, s3
	s_cbranch_execz .LBB2_6
; %bb.5:
	v_cvt_f32_u32_e32 v0, s16
	s_sub_i32 s3, 0, s16
	s_delay_alu instid0(VALU_DEP_1) | instskip(SKIP_2) | instid1(VALU_DEP_1)
	v_rcp_iflag_f32_e32 v0, v0
	s_waitcnt_depctr 0xfff
	v_mul_f32_e32 v0, 0x4f7ffffe, v0
	v_cvt_u32_f32_e32 v0, v0
	s_delay_alu instid0(VALU_DEP_1) | instskip(NEXT) | instid1(VALU_DEP_1)
	v_mul_lo_u32 v3, s3, v0
	v_mul_hi_u32 v3, v0, v3
	s_delay_alu instid0(VALU_DEP_1) | instskip(NEXT) | instid1(VALU_DEP_1)
	v_add_nc_u32_e32 v0, v0, v3
	v_mul_hi_u32 v0, v1, v0
	s_delay_alu instid0(VALU_DEP_1) | instskip(SKIP_1) | instid1(VALU_DEP_2)
	v_mul_lo_u32 v3, v0, s16
	v_add_nc_u32_e32 v4, 1, v0
	v_sub_nc_u32_e32 v3, v1, v3
	s_delay_alu instid0(VALU_DEP_1) | instskip(SKIP_1) | instid1(VALU_DEP_2)
	v_subrev_nc_u32_e32 v5, s16, v3
	v_cmp_le_u32_e32 vcc_lo, s16, v3
	v_dual_cndmask_b32 v3, v3, v5 :: v_dual_cndmask_b32 v0, v0, v4
	s_delay_alu instid0(VALU_DEP_1) | instskip(NEXT) | instid1(VALU_DEP_2)
	v_cmp_le_u32_e32 vcc_lo, s16, v3
	v_add_nc_u32_e32 v4, 1, v0
	s_delay_alu instid0(VALU_DEP_1)
	v_dual_cndmask_b32 v3, v0, v4 :: v_dual_mov_b32 v4, 0
.LBB2_6:
	s_or_b32 exec_lo, exec_lo, s2
	s_delay_alu instid0(VALU_DEP_1) | instskip(SKIP_1) | instid1(VALU_DEP_1)
	v_or_b32_e32 v6, s9, v4
	v_mov_b32_e32 v5, 0
	v_cmp_ne_u64_e32 vcc_lo, 0, v[5:6]
                                        ; implicit-def: $vgpr5_vgpr6
	s_and_saveexec_b32 s2, vcc_lo
	s_delay_alu instid0(SALU_CYCLE_1)
	s_xor_b32 s3, exec_lo, s2
	s_cbranch_execz .LBB2_8
; %bb.7:
	v_cvt_f32_u32_e32 v0, s8
	v_cvt_f32_u32_e32 v5, s9
	s_sub_u32 s2, 0, s8
	s_subb_u32 s11, 0, s9
	s_delay_alu instid0(VALU_DEP_1) | instskip(NEXT) | instid1(VALU_DEP_1)
	v_fmamk_f32 v0, v5, 0x4f800000, v0
	v_rcp_f32_e32 v0, v0
	s_waitcnt_depctr 0xfff
	v_mul_f32_e32 v0, 0x5f7ffffc, v0
	s_delay_alu instid0(VALU_DEP_1) | instskip(NEXT) | instid1(VALU_DEP_1)
	v_mul_f32_e32 v5, 0x2f800000, v0
	v_trunc_f32_e32 v5, v5
	s_delay_alu instid0(VALU_DEP_1) | instskip(SKIP_1) | instid1(VALU_DEP_2)
	v_fmamk_f32 v0, v5, 0xcf800000, v0
	v_cvt_u32_f32_e32 v5, v5
	v_cvt_u32_f32_e32 v0, v0
	s_delay_alu instid0(VALU_DEP_2) | instskip(NEXT) | instid1(VALU_DEP_2)
	v_mul_lo_u32 v6, s2, v5
	v_mul_hi_u32 v7, s2, v0
	v_mul_lo_u32 v8, s11, v0
	s_delay_alu instid0(VALU_DEP_2) | instskip(SKIP_1) | instid1(VALU_DEP_2)
	v_add_nc_u32_e32 v6, v7, v6
	v_mul_lo_u32 v7, s2, v0
	v_add_nc_u32_e32 v6, v6, v8
	s_delay_alu instid0(VALU_DEP_2) | instskip(NEXT) | instid1(VALU_DEP_2)
	v_mul_hi_u32 v8, v0, v7
	v_mul_lo_u32 v9, v0, v6
	v_mul_hi_u32 v10, v0, v6
	v_mul_hi_u32 v11, v5, v7
	v_mul_lo_u32 v7, v5, v7
	v_mul_hi_u32 v12, v5, v6
	v_mul_lo_u32 v6, v5, v6
	v_add_co_u32 v8, vcc_lo, v8, v9
	v_add_co_ci_u32_e32 v9, vcc_lo, 0, v10, vcc_lo
	s_delay_alu instid0(VALU_DEP_2) | instskip(NEXT) | instid1(VALU_DEP_2)
	v_add_co_u32 v7, vcc_lo, v8, v7
	v_add_co_ci_u32_e32 v7, vcc_lo, v9, v11, vcc_lo
	v_add_co_ci_u32_e32 v8, vcc_lo, 0, v12, vcc_lo
	s_delay_alu instid0(VALU_DEP_2) | instskip(NEXT) | instid1(VALU_DEP_2)
	v_add_co_u32 v6, vcc_lo, v7, v6
	v_add_co_ci_u32_e32 v7, vcc_lo, 0, v8, vcc_lo
	s_delay_alu instid0(VALU_DEP_2) | instskip(NEXT) | instid1(VALU_DEP_2)
	v_add_co_u32 v0, vcc_lo, v0, v6
	v_add_co_ci_u32_e32 v5, vcc_lo, v5, v7, vcc_lo
	s_delay_alu instid0(VALU_DEP_2) | instskip(SKIP_1) | instid1(VALU_DEP_3)
	v_mul_hi_u32 v6, s2, v0
	v_mul_lo_u32 v8, s11, v0
	v_mul_lo_u32 v7, s2, v5
	s_delay_alu instid0(VALU_DEP_1) | instskip(SKIP_1) | instid1(VALU_DEP_2)
	v_add_nc_u32_e32 v6, v6, v7
	v_mul_lo_u32 v7, s2, v0
	v_add_nc_u32_e32 v6, v6, v8
	s_delay_alu instid0(VALU_DEP_2) | instskip(NEXT) | instid1(VALU_DEP_2)
	v_mul_hi_u32 v8, v0, v7
	v_mul_lo_u32 v9, v0, v6
	v_mul_hi_u32 v10, v0, v6
	v_mul_hi_u32 v11, v5, v7
	v_mul_lo_u32 v7, v5, v7
	v_mul_hi_u32 v12, v5, v6
	v_mul_lo_u32 v6, v5, v6
	v_add_co_u32 v8, vcc_lo, v8, v9
	v_add_co_ci_u32_e32 v9, vcc_lo, 0, v10, vcc_lo
	s_delay_alu instid0(VALU_DEP_2) | instskip(NEXT) | instid1(VALU_DEP_2)
	v_add_co_u32 v7, vcc_lo, v8, v7
	v_add_co_ci_u32_e32 v7, vcc_lo, v9, v11, vcc_lo
	v_add_co_ci_u32_e32 v8, vcc_lo, 0, v12, vcc_lo
	s_delay_alu instid0(VALU_DEP_2) | instskip(NEXT) | instid1(VALU_DEP_2)
	v_add_co_u32 v6, vcc_lo, v7, v6
	v_add_co_ci_u32_e32 v7, vcc_lo, 0, v8, vcc_lo
	s_delay_alu instid0(VALU_DEP_2) | instskip(NEXT) | instid1(VALU_DEP_2)
	v_add_co_u32 v0, vcc_lo, v0, v6
	v_add_co_ci_u32_e32 v11, vcc_lo, v5, v7, vcc_lo
	s_delay_alu instid0(VALU_DEP_2) | instskip(SKIP_1) | instid1(VALU_DEP_3)
	v_mul_hi_u32 v12, v3, v0
	v_mad_u64_u32 v[7:8], null, v4, v0, 0
	v_mad_u64_u32 v[5:6], null, v3, v11, 0
	;; [unrolled: 1-line block ×3, first 2 shown]
	s_delay_alu instid0(VALU_DEP_2) | instskip(NEXT) | instid1(VALU_DEP_3)
	v_add_co_u32 v0, vcc_lo, v12, v5
	v_add_co_ci_u32_e32 v5, vcc_lo, 0, v6, vcc_lo
	s_delay_alu instid0(VALU_DEP_2) | instskip(NEXT) | instid1(VALU_DEP_2)
	v_add_co_u32 v0, vcc_lo, v0, v7
	v_add_co_ci_u32_e32 v0, vcc_lo, v5, v8, vcc_lo
	v_add_co_ci_u32_e32 v5, vcc_lo, 0, v10, vcc_lo
	s_delay_alu instid0(VALU_DEP_2) | instskip(NEXT) | instid1(VALU_DEP_2)
	v_add_co_u32 v0, vcc_lo, v0, v9
	v_add_co_ci_u32_e32 v7, vcc_lo, 0, v5, vcc_lo
	s_delay_alu instid0(VALU_DEP_2) | instskip(SKIP_1) | instid1(VALU_DEP_3)
	v_mul_lo_u32 v8, s9, v0
	v_mad_u64_u32 v[5:6], null, s8, v0, 0
	v_mul_lo_u32 v0, s8, v7
	s_delay_alu instid0(VALU_DEP_2) | instskip(NEXT) | instid1(VALU_DEP_2)
	v_sub_co_u32 v5, vcc_lo, v3, v5
	v_add3_u32 v0, v6, v0, v8
	s_delay_alu instid0(VALU_DEP_1) | instskip(NEXT) | instid1(VALU_DEP_1)
	v_sub_nc_u32_e32 v6, v4, v0
	v_subrev_co_ci_u32_e64 v6, s2, s9, v6, vcc_lo
	s_delay_alu instid0(VALU_DEP_4) | instskip(SKIP_1) | instid1(VALU_DEP_3)
	v_sub_co_u32 v7, s2, v5, s8
	v_sub_co_ci_u32_e32 v0, vcc_lo, v4, v0, vcc_lo
	v_subrev_co_ci_u32_e64 v6, s2, 0, v6, s2
	s_delay_alu instid0(VALU_DEP_3) | instskip(SKIP_1) | instid1(VALU_DEP_3)
	v_cmp_le_u32_e32 vcc_lo, s8, v7
	v_cndmask_b32_e64 v4, 0, -1, vcc_lo
	v_cmp_le_u32_e32 vcc_lo, s9, v6
	v_cndmask_b32_e64 v8, 0, -1, vcc_lo
	;; [unrolled: 2-line block ×4, first 2 shown]
	v_cmp_eq_u32_e32 vcc_lo, s9, v6
	v_cndmask_b32_e32 v4, v8, v4, vcc_lo
	v_sub_co_u32 v6, vcc_lo, v7, s8
	v_cmp_eq_u32_e32 vcc_lo, s9, v0
	v_cndmask_b32_e32 v0, v10, v9, vcc_lo
	s_delay_alu instid0(VALU_DEP_4) | instskip(NEXT) | instid1(VALU_DEP_4)
	v_cmp_ne_u32_e32 vcc_lo, 0, v4
	v_cndmask_b32_e32 v4, v7, v6, vcc_lo
	s_delay_alu instid0(VALU_DEP_3) | instskip(NEXT) | instid1(VALU_DEP_2)
	v_cmp_ne_u32_e32 vcc_lo, 0, v0
	v_cndmask_b32_e32 v5, v5, v4, vcc_lo
.LBB2_8:
	s_and_not1_saveexec_b32 s2, s3
	s_cbranch_execz .LBB2_10
; %bb.9:
	v_cvt_f32_u32_e32 v0, s8
	s_sub_i32 s3, 0, s8
	s_delay_alu instid0(VALU_DEP_1) | instskip(SKIP_2) | instid1(VALU_DEP_1)
	v_rcp_iflag_f32_e32 v0, v0
	s_waitcnt_depctr 0xfff
	v_mul_f32_e32 v0, 0x4f7ffffe, v0
	v_cvt_u32_f32_e32 v0, v0
	s_delay_alu instid0(VALU_DEP_1) | instskip(NEXT) | instid1(VALU_DEP_1)
	v_mul_lo_u32 v4, s3, v0
	v_mul_hi_u32 v4, v0, v4
	s_delay_alu instid0(VALU_DEP_1) | instskip(NEXT) | instid1(VALU_DEP_1)
	v_add_nc_u32_e32 v0, v0, v4
	v_mul_hi_u32 v0, v3, v0
	s_delay_alu instid0(VALU_DEP_1) | instskip(NEXT) | instid1(VALU_DEP_1)
	v_mul_lo_u32 v0, v0, s8
	v_sub_nc_u32_e32 v0, v3, v0
	s_delay_alu instid0(VALU_DEP_1) | instskip(SKIP_1) | instid1(VALU_DEP_2)
	v_subrev_nc_u32_e32 v4, s8, v0
	v_cmp_le_u32_e32 vcc_lo, s8, v0
	v_cndmask_b32_e32 v0, v0, v4, vcc_lo
	s_delay_alu instid0(VALU_DEP_1) | instskip(SKIP_1) | instid1(VALU_DEP_2)
	v_subrev_nc_u32_e32 v4, s8, v0
	v_cmp_le_u32_e32 vcc_lo, s8, v0
	v_cndmask_b32_e32 v5, v0, v4, vcc_lo
.LBB2_10:
	s_or_b32 exec_lo, exec_lo, s2
	s_load_b32 s0, s[0:1], 0x30
	v_mul_lo_u32 v0, v3, s16
	v_lshlrev_b64 v[6:7], 1, v[1:2]
	s_bfe_i64 s[2:3], s[12:13], 0x200000
	s_mul_i32 s1, s10, s8
	s_lshl_b64 s[2:3], s[2:3], 1
	s_mov_b64 s[8:9], 0
	s_delay_alu instid0(VALU_DEP_1) | instskip(NEXT) | instid1(VALU_DEP_3)
	v_add_co_u32 v2, vcc_lo, s18, v6
	v_sub_nc_u32_e32 v0, v1, v0
	s_delay_alu instid0(VALU_DEP_1) | instskip(SKIP_1) | instid1(VALU_DEP_1)
	v_cvt_f32_i32_e32 v0, v0
	s_waitcnt lgkmcnt(0)
	v_mul_f32_e32 v0, s0, v0
	s_add_i32 s0, s10, -1
	s_delay_alu instid0(VALU_DEP_1) | instskip(NEXT) | instid1(VALU_DEP_1)
	v_floor_f32_e32 v0, v0
	v_cvt_i32_f32_e32 v0, v0
	s_delay_alu instid0(VALU_DEP_1) | instskip(NEXT) | instid1(VALU_DEP_1)
	v_min_i32_e32 v3, s0, v0
	v_mad_u64_u32 v[0:1], null, v5, s10, v[3:4]
	v_add_co_ci_u32_e32 v3, vcc_lo, s19, v7, vcc_lo
	.p2align	6
.LBB2_11:                               ; =>This Inner Loop Header: Depth=1
	s_delay_alu instid0(VALU_DEP_2) | instskip(SKIP_2) | instid1(SALU_CYCLE_1)
	v_ashrrev_i32_e32 v1, 31, v0
	s_add_u32 s8, s8, 1
	s_addc_u32 s9, s9, 0
	v_cmp_lt_u64_e64 s0, s[8:9], s[6:7]
	s_delay_alu instid0(VALU_DEP_2) | instskip(SKIP_1) | instid1(VALU_DEP_2)
	v_lshlrev_b64 v[4:5], 1, v[0:1]
	v_add_nc_u32_e32 v0, s1, v0
	v_add_co_u32 v4, vcc_lo, s4, v4
	s_delay_alu instid0(VALU_DEP_3)
	v_add_co_ci_u32_e32 v5, vcc_lo, s5, v5, vcc_lo
	s_and_b32 vcc_lo, exec_lo, s0
	global_load_u16 v1, v[4:5], off
	s_waitcnt vmcnt(0)
	global_store_b16 v[2:3], v1, off
	v_add_co_u32 v2, s0, v2, s2
	s_delay_alu instid0(VALU_DEP_1)
	v_add_co_ci_u32_e64 v3, s0, s3, v3, s0
	s_cbranch_vccnz .LBB2_11
.LBB2_12:
	s_nop 0
	s_sendmsg sendmsg(MSG_DEALLOC_VGPRS)
	s_endpgm
	.section	.rodata,"a",@progbits
	.p2align	6, 0x0
	.amdhsa_kernel _ZN2at6native12_GLOBAL__N_128upsample_nearest1d_out_frameIN3c104HalfEXadL_ZNS0_37nearest_neighbor_compute_source_indexEfiiEEEEvPKT_mmmmPS5_f
		.amdhsa_group_segment_fixed_size 0
		.amdhsa_private_segment_fixed_size 0
		.amdhsa_kernarg_size 312
		.amdhsa_user_sgpr_count 15
		.amdhsa_user_sgpr_dispatch_ptr 0
		.amdhsa_user_sgpr_queue_ptr 0
		.amdhsa_user_sgpr_kernarg_segment_ptr 1
		.amdhsa_user_sgpr_dispatch_id 0
		.amdhsa_user_sgpr_private_segment_size 0
		.amdhsa_wavefront_size32 1
		.amdhsa_uses_dynamic_stack 0
		.amdhsa_enable_private_segment 0
		.amdhsa_system_sgpr_workgroup_id_x 1
		.amdhsa_system_sgpr_workgroup_id_y 0
		.amdhsa_system_sgpr_workgroup_id_z 0
		.amdhsa_system_sgpr_workgroup_info 0
		.amdhsa_system_vgpr_workitem_id 0
		.amdhsa_next_free_vgpr 13
		.amdhsa_next_free_sgpr 20
		.amdhsa_reserve_vcc 1
		.amdhsa_float_round_mode_32 0
		.amdhsa_float_round_mode_16_64 0
		.amdhsa_float_denorm_mode_32 3
		.amdhsa_float_denorm_mode_16_64 3
		.amdhsa_dx10_clamp 1
		.amdhsa_ieee_mode 1
		.amdhsa_fp16_overflow 0
		.amdhsa_workgroup_processor_mode 1
		.amdhsa_memory_ordered 1
		.amdhsa_forward_progress 0
		.amdhsa_shared_vgpr_count 0
		.amdhsa_exception_fp_ieee_invalid_op 0
		.amdhsa_exception_fp_denorm_src 0
		.amdhsa_exception_fp_ieee_div_zero 0
		.amdhsa_exception_fp_ieee_overflow 0
		.amdhsa_exception_fp_ieee_underflow 0
		.amdhsa_exception_fp_ieee_inexact 0
		.amdhsa_exception_int_div_zero 0
	.end_amdhsa_kernel
	.section	.text._ZN2at6native12_GLOBAL__N_128upsample_nearest1d_out_frameIN3c104HalfEXadL_ZNS0_37nearest_neighbor_compute_source_indexEfiiEEEEvPKT_mmmmPS5_f,"axG",@progbits,_ZN2at6native12_GLOBAL__N_128upsample_nearest1d_out_frameIN3c104HalfEXadL_ZNS0_37nearest_neighbor_compute_source_indexEfiiEEEEvPKT_mmmmPS5_f,comdat
.Lfunc_end2:
	.size	_ZN2at6native12_GLOBAL__N_128upsample_nearest1d_out_frameIN3c104HalfEXadL_ZNS0_37nearest_neighbor_compute_source_indexEfiiEEEEvPKT_mmmmPS5_f, .Lfunc_end2-_ZN2at6native12_GLOBAL__N_128upsample_nearest1d_out_frameIN3c104HalfEXadL_ZNS0_37nearest_neighbor_compute_source_indexEfiiEEEEvPKT_mmmmPS5_f
                                        ; -- End function
	.section	.AMDGPU.csdata,"",@progbits
; Kernel info:
; codeLenInByte = 2112
; NumSgprs: 22
; NumVgprs: 13
; ScratchSize: 0
; MemoryBound: 0
; FloatMode: 240
; IeeeMode: 1
; LDSByteSize: 0 bytes/workgroup (compile time only)
; SGPRBlocks: 2
; VGPRBlocks: 1
; NumSGPRsForWavesPerEU: 22
; NumVGPRsForWavesPerEU: 13
; Occupancy: 16
; WaveLimiterHint : 0
; COMPUTE_PGM_RSRC2:SCRATCH_EN: 0
; COMPUTE_PGM_RSRC2:USER_SGPR: 15
; COMPUTE_PGM_RSRC2:TRAP_HANDLER: 0
; COMPUTE_PGM_RSRC2:TGID_X_EN: 1
; COMPUTE_PGM_RSRC2:TGID_Y_EN: 0
; COMPUTE_PGM_RSRC2:TGID_Z_EN: 0
; COMPUTE_PGM_RSRC2:TIDIG_COMP_CNT: 0
	.section	.text._ZN2at6native12_GLOBAL__N_128upsample_nearest1d_out_frameIN3c108BFloat16EXadL_ZNS0_37nearest_neighbor_compute_source_indexEfiiEEEEvPKT_mmmmPS5_f,"axG",@progbits,_ZN2at6native12_GLOBAL__N_128upsample_nearest1d_out_frameIN3c108BFloat16EXadL_ZNS0_37nearest_neighbor_compute_source_indexEfiiEEEEvPKT_mmmmPS5_f,comdat
	.globl	_ZN2at6native12_GLOBAL__N_128upsample_nearest1d_out_frameIN3c108BFloat16EXadL_ZNS0_37nearest_neighbor_compute_source_indexEfiiEEEEvPKT_mmmmPS5_f ; -- Begin function _ZN2at6native12_GLOBAL__N_128upsample_nearest1d_out_frameIN3c108BFloat16EXadL_ZNS0_37nearest_neighbor_compute_source_indexEfiiEEEEvPKT_mmmmPS5_f
	.p2align	8
	.type	_ZN2at6native12_GLOBAL__N_128upsample_nearest1d_out_frameIN3c108BFloat16EXadL_ZNS0_37nearest_neighbor_compute_source_indexEfiiEEEEvPKT_mmmmPS5_f,@function
_ZN2at6native12_GLOBAL__N_128upsample_nearest1d_out_frameIN3c108BFloat16EXadL_ZNS0_37nearest_neighbor_compute_source_indexEfiiEEEEvPKT_mmmmPS5_f: ; @_ZN2at6native12_GLOBAL__N_128upsample_nearest1d_out_frameIN3c108BFloat16EXadL_ZNS0_37nearest_neighbor_compute_source_indexEfiiEEEEvPKT_mmmmPS5_f
; %bb.0:
	s_clause 0x2
	s_load_b32 s2, s[0:1], 0x44
	s_load_b128 s[16:19], s[0:1], 0x20
	s_load_b256 s[4:11], s[0:1], 0x0
	s_waitcnt lgkmcnt(0)
	s_and_b32 s2, s2, 0xffff
	s_delay_alu instid0(SALU_CYCLE_1)
	v_mad_u64_u32 v[1:2], null, s15, s2, v[0:1]
	s_mul_i32 s2, s16, s9
	s_mul_hi_u32 s3, s16, s8
	s_mul_i32 s12, s16, s8
	s_add_i32 s2, s3, s2
	s_mul_i32 s3, s17, s8
	s_delay_alu instid0(SALU_CYCLE_1) | instskip(NEXT) | instid1(VALU_DEP_1)
	s_add_i32 s13, s2, s3
	v_ashrrev_i32_e32 v2, 31, v1
	s_mov_b32 s2, exec_lo
	s_delay_alu instid0(VALU_DEP_1)
	v_cmpx_gt_u64_e64 s[12:13], v[1:2]
	s_cbranch_execz .LBB3_12
; %bb.1:
	s_cmp_eq_u64 s[6:7], 0
	s_cbranch_scc1 .LBB3_12
; %bb.2:
	v_or_b32_e32 v4, s17, v2
	v_mov_b32_e32 v3, 0
	s_delay_alu instid0(VALU_DEP_1) | instskip(SKIP_1) | instid1(SALU_CYCLE_1)
	v_cmp_ne_u64_e32 vcc_lo, 0, v[3:4]
                                        ; implicit-def: $vgpr3_vgpr4
	s_and_saveexec_b32 s2, vcc_lo
	s_xor_b32 s3, exec_lo, s2
	s_cbranch_execz .LBB3_4
; %bb.3:
	v_cvt_f32_u32_e32 v0, s16
	v_cvt_f32_u32_e32 v3, s17
	s_sub_u32 s2, 0, s16
	s_subb_u32 s11, 0, s17
	s_delay_alu instid0(VALU_DEP_1) | instskip(NEXT) | instid1(VALU_DEP_1)
	v_fmamk_f32 v0, v3, 0x4f800000, v0
	v_rcp_f32_e32 v0, v0
	s_waitcnt_depctr 0xfff
	v_mul_f32_e32 v0, 0x5f7ffffc, v0
	s_delay_alu instid0(VALU_DEP_1) | instskip(NEXT) | instid1(VALU_DEP_1)
	v_mul_f32_e32 v3, 0x2f800000, v0
	v_trunc_f32_e32 v3, v3
	s_delay_alu instid0(VALU_DEP_1) | instskip(SKIP_1) | instid1(VALU_DEP_2)
	v_fmamk_f32 v0, v3, 0xcf800000, v0
	v_cvt_u32_f32_e32 v3, v3
	v_cvt_u32_f32_e32 v0, v0
	s_delay_alu instid0(VALU_DEP_2) | instskip(NEXT) | instid1(VALU_DEP_2)
	v_mul_lo_u32 v4, s2, v3
	v_mul_hi_u32 v5, s2, v0
	v_mul_lo_u32 v6, s11, v0
	s_delay_alu instid0(VALU_DEP_2) | instskip(SKIP_1) | instid1(VALU_DEP_2)
	v_add_nc_u32_e32 v4, v5, v4
	v_mul_lo_u32 v5, s2, v0
	v_add_nc_u32_e32 v4, v4, v6
	s_delay_alu instid0(VALU_DEP_2) | instskip(NEXT) | instid1(VALU_DEP_2)
	v_mul_hi_u32 v6, v0, v5
	v_mul_lo_u32 v7, v0, v4
	v_mul_hi_u32 v8, v0, v4
	v_mul_hi_u32 v9, v3, v5
	v_mul_lo_u32 v5, v3, v5
	v_mul_hi_u32 v10, v3, v4
	v_mul_lo_u32 v4, v3, v4
	v_add_co_u32 v6, vcc_lo, v6, v7
	v_add_co_ci_u32_e32 v7, vcc_lo, 0, v8, vcc_lo
	s_delay_alu instid0(VALU_DEP_2) | instskip(NEXT) | instid1(VALU_DEP_2)
	v_add_co_u32 v5, vcc_lo, v6, v5
	v_add_co_ci_u32_e32 v5, vcc_lo, v7, v9, vcc_lo
	v_add_co_ci_u32_e32 v6, vcc_lo, 0, v10, vcc_lo
	s_delay_alu instid0(VALU_DEP_2) | instskip(NEXT) | instid1(VALU_DEP_2)
	v_add_co_u32 v4, vcc_lo, v5, v4
	v_add_co_ci_u32_e32 v5, vcc_lo, 0, v6, vcc_lo
	s_delay_alu instid0(VALU_DEP_2) | instskip(NEXT) | instid1(VALU_DEP_2)
	v_add_co_u32 v0, vcc_lo, v0, v4
	v_add_co_ci_u32_e32 v3, vcc_lo, v3, v5, vcc_lo
	s_delay_alu instid0(VALU_DEP_2) | instskip(SKIP_1) | instid1(VALU_DEP_3)
	v_mul_hi_u32 v4, s2, v0
	v_mul_lo_u32 v6, s11, v0
	v_mul_lo_u32 v5, s2, v3
	s_delay_alu instid0(VALU_DEP_1) | instskip(SKIP_1) | instid1(VALU_DEP_2)
	v_add_nc_u32_e32 v4, v4, v5
	v_mul_lo_u32 v5, s2, v0
	v_add_nc_u32_e32 v4, v4, v6
	s_delay_alu instid0(VALU_DEP_2) | instskip(NEXT) | instid1(VALU_DEP_2)
	v_mul_hi_u32 v6, v0, v5
	v_mul_lo_u32 v7, v0, v4
	v_mul_hi_u32 v8, v0, v4
	v_mul_hi_u32 v9, v3, v5
	v_mul_lo_u32 v5, v3, v5
	v_mul_hi_u32 v10, v3, v4
	v_mul_lo_u32 v4, v3, v4
	v_add_co_u32 v6, vcc_lo, v6, v7
	v_add_co_ci_u32_e32 v7, vcc_lo, 0, v8, vcc_lo
	s_delay_alu instid0(VALU_DEP_2) | instskip(NEXT) | instid1(VALU_DEP_2)
	v_add_co_u32 v5, vcc_lo, v6, v5
	v_add_co_ci_u32_e32 v5, vcc_lo, v7, v9, vcc_lo
	v_add_co_ci_u32_e32 v6, vcc_lo, 0, v10, vcc_lo
	s_delay_alu instid0(VALU_DEP_2) | instskip(NEXT) | instid1(VALU_DEP_2)
	v_add_co_u32 v4, vcc_lo, v5, v4
	v_add_co_ci_u32_e32 v5, vcc_lo, 0, v6, vcc_lo
	s_delay_alu instid0(VALU_DEP_2) | instskip(NEXT) | instid1(VALU_DEP_2)
	v_add_co_u32 v0, vcc_lo, v0, v4
	v_add_co_ci_u32_e32 v9, vcc_lo, v3, v5, vcc_lo
	s_delay_alu instid0(VALU_DEP_2) | instskip(SKIP_1) | instid1(VALU_DEP_3)
	v_mul_hi_u32 v10, v1, v0
	v_mad_u64_u32 v[5:6], null, v2, v0, 0
	v_mad_u64_u32 v[3:4], null, v1, v9, 0
	;; [unrolled: 1-line block ×3, first 2 shown]
	s_delay_alu instid0(VALU_DEP_2) | instskip(NEXT) | instid1(VALU_DEP_3)
	v_add_co_u32 v0, vcc_lo, v10, v3
	v_add_co_ci_u32_e32 v3, vcc_lo, 0, v4, vcc_lo
	s_delay_alu instid0(VALU_DEP_2) | instskip(NEXT) | instid1(VALU_DEP_2)
	v_add_co_u32 v0, vcc_lo, v0, v5
	v_add_co_ci_u32_e32 v0, vcc_lo, v3, v6, vcc_lo
	v_add_co_ci_u32_e32 v3, vcc_lo, 0, v8, vcc_lo
	s_delay_alu instid0(VALU_DEP_2) | instskip(NEXT) | instid1(VALU_DEP_2)
	v_add_co_u32 v0, vcc_lo, v0, v7
	v_add_co_ci_u32_e32 v5, vcc_lo, 0, v3, vcc_lo
	s_delay_alu instid0(VALU_DEP_2) | instskip(SKIP_1) | instid1(VALU_DEP_3)
	v_mul_lo_u32 v6, s17, v0
	v_mad_u64_u32 v[3:4], null, s16, v0, 0
	v_mul_lo_u32 v7, s16, v5
	s_delay_alu instid0(VALU_DEP_2) | instskip(NEXT) | instid1(VALU_DEP_2)
	v_sub_co_u32 v3, vcc_lo, v1, v3
	v_add3_u32 v4, v4, v7, v6
	s_delay_alu instid0(VALU_DEP_1) | instskip(NEXT) | instid1(VALU_DEP_1)
	v_sub_nc_u32_e32 v6, v2, v4
	v_subrev_co_ci_u32_e64 v6, s2, s17, v6, vcc_lo
	v_add_co_u32 v7, s2, v0, 2
	s_delay_alu instid0(VALU_DEP_1) | instskip(SKIP_3) | instid1(VALU_DEP_3)
	v_add_co_ci_u32_e64 v8, s2, 0, v5, s2
	v_sub_co_u32 v9, s2, v3, s16
	v_sub_co_ci_u32_e32 v4, vcc_lo, v2, v4, vcc_lo
	v_subrev_co_ci_u32_e64 v6, s2, 0, v6, s2
	v_cmp_le_u32_e32 vcc_lo, s16, v9
	s_delay_alu instid0(VALU_DEP_3) | instskip(SKIP_1) | instid1(VALU_DEP_4)
	v_cmp_eq_u32_e64 s2, s17, v4
	v_cndmask_b32_e64 v9, 0, -1, vcc_lo
	v_cmp_le_u32_e32 vcc_lo, s17, v6
	v_cndmask_b32_e64 v10, 0, -1, vcc_lo
	v_cmp_le_u32_e32 vcc_lo, s16, v3
	v_cndmask_b32_e64 v3, 0, -1, vcc_lo
	v_cmp_le_u32_e32 vcc_lo, s17, v4
	v_cndmask_b32_e64 v11, 0, -1, vcc_lo
	v_cmp_eq_u32_e32 vcc_lo, s17, v6
	s_delay_alu instid0(VALU_DEP_2) | instskip(SKIP_3) | instid1(VALU_DEP_3)
	v_cndmask_b32_e64 v3, v11, v3, s2
	v_cndmask_b32_e32 v6, v10, v9, vcc_lo
	v_add_co_u32 v9, vcc_lo, v0, 1
	v_add_co_ci_u32_e32 v10, vcc_lo, 0, v5, vcc_lo
	v_cmp_ne_u32_e32 vcc_lo, 0, v6
	s_delay_alu instid0(VALU_DEP_2) | instskip(NEXT) | instid1(VALU_DEP_4)
	v_cndmask_b32_e32 v4, v10, v8, vcc_lo
	v_cndmask_b32_e32 v6, v9, v7, vcc_lo
	v_cmp_ne_u32_e32 vcc_lo, 0, v3
	s_delay_alu instid0(VALU_DEP_2)
	v_dual_cndmask_b32 v3, v0, v6 :: v_dual_cndmask_b32 v4, v5, v4
.LBB3_4:
	s_and_not1_saveexec_b32 s2, s3
	s_cbranch_execz .LBB3_6
; %bb.5:
	v_cvt_f32_u32_e32 v0, s16
	s_sub_i32 s3, 0, s16
	s_delay_alu instid0(VALU_DEP_1) | instskip(SKIP_2) | instid1(VALU_DEP_1)
	v_rcp_iflag_f32_e32 v0, v0
	s_waitcnt_depctr 0xfff
	v_mul_f32_e32 v0, 0x4f7ffffe, v0
	v_cvt_u32_f32_e32 v0, v0
	s_delay_alu instid0(VALU_DEP_1) | instskip(NEXT) | instid1(VALU_DEP_1)
	v_mul_lo_u32 v3, s3, v0
	v_mul_hi_u32 v3, v0, v3
	s_delay_alu instid0(VALU_DEP_1) | instskip(NEXT) | instid1(VALU_DEP_1)
	v_add_nc_u32_e32 v0, v0, v3
	v_mul_hi_u32 v0, v1, v0
	s_delay_alu instid0(VALU_DEP_1) | instskip(SKIP_1) | instid1(VALU_DEP_2)
	v_mul_lo_u32 v3, v0, s16
	v_add_nc_u32_e32 v4, 1, v0
	v_sub_nc_u32_e32 v3, v1, v3
	s_delay_alu instid0(VALU_DEP_1) | instskip(SKIP_1) | instid1(VALU_DEP_2)
	v_subrev_nc_u32_e32 v5, s16, v3
	v_cmp_le_u32_e32 vcc_lo, s16, v3
	v_dual_cndmask_b32 v3, v3, v5 :: v_dual_cndmask_b32 v0, v0, v4
	s_delay_alu instid0(VALU_DEP_1) | instskip(NEXT) | instid1(VALU_DEP_2)
	v_cmp_le_u32_e32 vcc_lo, s16, v3
	v_add_nc_u32_e32 v4, 1, v0
	s_delay_alu instid0(VALU_DEP_1)
	v_dual_cndmask_b32 v3, v0, v4 :: v_dual_mov_b32 v4, 0
.LBB3_6:
	s_or_b32 exec_lo, exec_lo, s2
	s_delay_alu instid0(VALU_DEP_1) | instskip(SKIP_1) | instid1(VALU_DEP_1)
	v_or_b32_e32 v6, s9, v4
	v_mov_b32_e32 v5, 0
	v_cmp_ne_u64_e32 vcc_lo, 0, v[5:6]
                                        ; implicit-def: $vgpr5_vgpr6
	s_and_saveexec_b32 s2, vcc_lo
	s_delay_alu instid0(SALU_CYCLE_1)
	s_xor_b32 s3, exec_lo, s2
	s_cbranch_execz .LBB3_8
; %bb.7:
	v_cvt_f32_u32_e32 v0, s8
	v_cvt_f32_u32_e32 v5, s9
	s_sub_u32 s2, 0, s8
	s_subb_u32 s11, 0, s9
	s_delay_alu instid0(VALU_DEP_1) | instskip(NEXT) | instid1(VALU_DEP_1)
	v_fmamk_f32 v0, v5, 0x4f800000, v0
	v_rcp_f32_e32 v0, v0
	s_waitcnt_depctr 0xfff
	v_mul_f32_e32 v0, 0x5f7ffffc, v0
	s_delay_alu instid0(VALU_DEP_1) | instskip(NEXT) | instid1(VALU_DEP_1)
	v_mul_f32_e32 v5, 0x2f800000, v0
	v_trunc_f32_e32 v5, v5
	s_delay_alu instid0(VALU_DEP_1) | instskip(SKIP_1) | instid1(VALU_DEP_2)
	v_fmamk_f32 v0, v5, 0xcf800000, v0
	v_cvt_u32_f32_e32 v5, v5
	v_cvt_u32_f32_e32 v0, v0
	s_delay_alu instid0(VALU_DEP_2) | instskip(NEXT) | instid1(VALU_DEP_2)
	v_mul_lo_u32 v6, s2, v5
	v_mul_hi_u32 v7, s2, v0
	v_mul_lo_u32 v8, s11, v0
	s_delay_alu instid0(VALU_DEP_2) | instskip(SKIP_1) | instid1(VALU_DEP_2)
	v_add_nc_u32_e32 v6, v7, v6
	v_mul_lo_u32 v7, s2, v0
	v_add_nc_u32_e32 v6, v6, v8
	s_delay_alu instid0(VALU_DEP_2) | instskip(NEXT) | instid1(VALU_DEP_2)
	v_mul_hi_u32 v8, v0, v7
	v_mul_lo_u32 v9, v0, v6
	v_mul_hi_u32 v10, v0, v6
	v_mul_hi_u32 v11, v5, v7
	v_mul_lo_u32 v7, v5, v7
	v_mul_hi_u32 v12, v5, v6
	v_mul_lo_u32 v6, v5, v6
	v_add_co_u32 v8, vcc_lo, v8, v9
	v_add_co_ci_u32_e32 v9, vcc_lo, 0, v10, vcc_lo
	s_delay_alu instid0(VALU_DEP_2) | instskip(NEXT) | instid1(VALU_DEP_2)
	v_add_co_u32 v7, vcc_lo, v8, v7
	v_add_co_ci_u32_e32 v7, vcc_lo, v9, v11, vcc_lo
	v_add_co_ci_u32_e32 v8, vcc_lo, 0, v12, vcc_lo
	s_delay_alu instid0(VALU_DEP_2) | instskip(NEXT) | instid1(VALU_DEP_2)
	v_add_co_u32 v6, vcc_lo, v7, v6
	v_add_co_ci_u32_e32 v7, vcc_lo, 0, v8, vcc_lo
	s_delay_alu instid0(VALU_DEP_2) | instskip(NEXT) | instid1(VALU_DEP_2)
	v_add_co_u32 v0, vcc_lo, v0, v6
	v_add_co_ci_u32_e32 v5, vcc_lo, v5, v7, vcc_lo
	s_delay_alu instid0(VALU_DEP_2) | instskip(SKIP_1) | instid1(VALU_DEP_3)
	v_mul_hi_u32 v6, s2, v0
	v_mul_lo_u32 v8, s11, v0
	v_mul_lo_u32 v7, s2, v5
	s_delay_alu instid0(VALU_DEP_1) | instskip(SKIP_1) | instid1(VALU_DEP_2)
	v_add_nc_u32_e32 v6, v6, v7
	v_mul_lo_u32 v7, s2, v0
	v_add_nc_u32_e32 v6, v6, v8
	s_delay_alu instid0(VALU_DEP_2) | instskip(NEXT) | instid1(VALU_DEP_2)
	v_mul_hi_u32 v8, v0, v7
	v_mul_lo_u32 v9, v0, v6
	v_mul_hi_u32 v10, v0, v6
	v_mul_hi_u32 v11, v5, v7
	v_mul_lo_u32 v7, v5, v7
	v_mul_hi_u32 v12, v5, v6
	v_mul_lo_u32 v6, v5, v6
	v_add_co_u32 v8, vcc_lo, v8, v9
	v_add_co_ci_u32_e32 v9, vcc_lo, 0, v10, vcc_lo
	s_delay_alu instid0(VALU_DEP_2) | instskip(NEXT) | instid1(VALU_DEP_2)
	v_add_co_u32 v7, vcc_lo, v8, v7
	v_add_co_ci_u32_e32 v7, vcc_lo, v9, v11, vcc_lo
	v_add_co_ci_u32_e32 v8, vcc_lo, 0, v12, vcc_lo
	s_delay_alu instid0(VALU_DEP_2) | instskip(NEXT) | instid1(VALU_DEP_2)
	v_add_co_u32 v6, vcc_lo, v7, v6
	v_add_co_ci_u32_e32 v7, vcc_lo, 0, v8, vcc_lo
	s_delay_alu instid0(VALU_DEP_2) | instskip(NEXT) | instid1(VALU_DEP_2)
	v_add_co_u32 v0, vcc_lo, v0, v6
	v_add_co_ci_u32_e32 v11, vcc_lo, v5, v7, vcc_lo
	s_delay_alu instid0(VALU_DEP_2) | instskip(SKIP_1) | instid1(VALU_DEP_3)
	v_mul_hi_u32 v12, v3, v0
	v_mad_u64_u32 v[7:8], null, v4, v0, 0
	v_mad_u64_u32 v[5:6], null, v3, v11, 0
	;; [unrolled: 1-line block ×3, first 2 shown]
	s_delay_alu instid0(VALU_DEP_2) | instskip(NEXT) | instid1(VALU_DEP_3)
	v_add_co_u32 v0, vcc_lo, v12, v5
	v_add_co_ci_u32_e32 v5, vcc_lo, 0, v6, vcc_lo
	s_delay_alu instid0(VALU_DEP_2) | instskip(NEXT) | instid1(VALU_DEP_2)
	v_add_co_u32 v0, vcc_lo, v0, v7
	v_add_co_ci_u32_e32 v0, vcc_lo, v5, v8, vcc_lo
	v_add_co_ci_u32_e32 v5, vcc_lo, 0, v10, vcc_lo
	s_delay_alu instid0(VALU_DEP_2) | instskip(NEXT) | instid1(VALU_DEP_2)
	v_add_co_u32 v0, vcc_lo, v0, v9
	v_add_co_ci_u32_e32 v7, vcc_lo, 0, v5, vcc_lo
	s_delay_alu instid0(VALU_DEP_2) | instskip(SKIP_1) | instid1(VALU_DEP_3)
	v_mul_lo_u32 v8, s9, v0
	v_mad_u64_u32 v[5:6], null, s8, v0, 0
	v_mul_lo_u32 v0, s8, v7
	s_delay_alu instid0(VALU_DEP_2) | instskip(NEXT) | instid1(VALU_DEP_2)
	v_sub_co_u32 v5, vcc_lo, v3, v5
	v_add3_u32 v0, v6, v0, v8
	s_delay_alu instid0(VALU_DEP_1) | instskip(NEXT) | instid1(VALU_DEP_1)
	v_sub_nc_u32_e32 v6, v4, v0
	v_subrev_co_ci_u32_e64 v6, s2, s9, v6, vcc_lo
	s_delay_alu instid0(VALU_DEP_4) | instskip(SKIP_1) | instid1(VALU_DEP_3)
	v_sub_co_u32 v7, s2, v5, s8
	v_sub_co_ci_u32_e32 v0, vcc_lo, v4, v0, vcc_lo
	v_subrev_co_ci_u32_e64 v6, s2, 0, v6, s2
	s_delay_alu instid0(VALU_DEP_3) | instskip(SKIP_1) | instid1(VALU_DEP_3)
	v_cmp_le_u32_e32 vcc_lo, s8, v7
	v_cndmask_b32_e64 v4, 0, -1, vcc_lo
	v_cmp_le_u32_e32 vcc_lo, s9, v6
	v_cndmask_b32_e64 v8, 0, -1, vcc_lo
	;; [unrolled: 2-line block ×4, first 2 shown]
	v_cmp_eq_u32_e32 vcc_lo, s9, v6
	v_cndmask_b32_e32 v4, v8, v4, vcc_lo
	v_sub_co_u32 v6, vcc_lo, v7, s8
	v_cmp_eq_u32_e32 vcc_lo, s9, v0
	v_cndmask_b32_e32 v0, v10, v9, vcc_lo
	s_delay_alu instid0(VALU_DEP_4) | instskip(NEXT) | instid1(VALU_DEP_4)
	v_cmp_ne_u32_e32 vcc_lo, 0, v4
	v_cndmask_b32_e32 v4, v7, v6, vcc_lo
	s_delay_alu instid0(VALU_DEP_3) | instskip(NEXT) | instid1(VALU_DEP_2)
	v_cmp_ne_u32_e32 vcc_lo, 0, v0
	v_cndmask_b32_e32 v5, v5, v4, vcc_lo
.LBB3_8:
	s_and_not1_saveexec_b32 s2, s3
	s_cbranch_execz .LBB3_10
; %bb.9:
	v_cvt_f32_u32_e32 v0, s8
	s_sub_i32 s3, 0, s8
	s_delay_alu instid0(VALU_DEP_1) | instskip(SKIP_2) | instid1(VALU_DEP_1)
	v_rcp_iflag_f32_e32 v0, v0
	s_waitcnt_depctr 0xfff
	v_mul_f32_e32 v0, 0x4f7ffffe, v0
	v_cvt_u32_f32_e32 v0, v0
	s_delay_alu instid0(VALU_DEP_1) | instskip(NEXT) | instid1(VALU_DEP_1)
	v_mul_lo_u32 v4, s3, v0
	v_mul_hi_u32 v4, v0, v4
	s_delay_alu instid0(VALU_DEP_1) | instskip(NEXT) | instid1(VALU_DEP_1)
	v_add_nc_u32_e32 v0, v0, v4
	v_mul_hi_u32 v0, v3, v0
	s_delay_alu instid0(VALU_DEP_1) | instskip(NEXT) | instid1(VALU_DEP_1)
	v_mul_lo_u32 v0, v0, s8
	v_sub_nc_u32_e32 v0, v3, v0
	s_delay_alu instid0(VALU_DEP_1) | instskip(SKIP_1) | instid1(VALU_DEP_2)
	v_subrev_nc_u32_e32 v4, s8, v0
	v_cmp_le_u32_e32 vcc_lo, s8, v0
	v_cndmask_b32_e32 v0, v0, v4, vcc_lo
	s_delay_alu instid0(VALU_DEP_1) | instskip(SKIP_1) | instid1(VALU_DEP_2)
	v_subrev_nc_u32_e32 v4, s8, v0
	v_cmp_le_u32_e32 vcc_lo, s8, v0
	v_cndmask_b32_e32 v5, v0, v4, vcc_lo
.LBB3_10:
	s_or_b32 exec_lo, exec_lo, s2
	s_load_b32 s0, s[0:1], 0x30
	v_mul_lo_u32 v0, v3, s16
	v_lshlrev_b64 v[6:7], 1, v[1:2]
	s_bfe_i64 s[2:3], s[12:13], 0x200000
	s_mul_i32 s1, s10, s8
	s_lshl_b64 s[2:3], s[2:3], 1
	s_mov_b64 s[8:9], 0
	s_delay_alu instid0(VALU_DEP_1) | instskip(NEXT) | instid1(VALU_DEP_3)
	v_add_co_u32 v2, vcc_lo, s18, v6
	v_sub_nc_u32_e32 v0, v1, v0
	s_delay_alu instid0(VALU_DEP_1) | instskip(SKIP_1) | instid1(VALU_DEP_1)
	v_cvt_f32_i32_e32 v0, v0
	s_waitcnt lgkmcnt(0)
	v_mul_f32_e32 v0, s0, v0
	s_add_i32 s0, s10, -1
	s_delay_alu instid0(VALU_DEP_1) | instskip(NEXT) | instid1(VALU_DEP_1)
	v_floor_f32_e32 v0, v0
	v_cvt_i32_f32_e32 v0, v0
	s_delay_alu instid0(VALU_DEP_1) | instskip(NEXT) | instid1(VALU_DEP_1)
	v_min_i32_e32 v3, s0, v0
	v_mad_u64_u32 v[0:1], null, v5, s10, v[3:4]
	v_add_co_ci_u32_e32 v3, vcc_lo, s19, v7, vcc_lo
	.p2align	6
.LBB3_11:                               ; =>This Inner Loop Header: Depth=1
	s_delay_alu instid0(VALU_DEP_2) | instskip(SKIP_2) | instid1(SALU_CYCLE_1)
	v_ashrrev_i32_e32 v1, 31, v0
	s_add_u32 s8, s8, 1
	s_addc_u32 s9, s9, 0
	v_cmp_lt_u64_e64 s0, s[8:9], s[6:7]
	s_delay_alu instid0(VALU_DEP_2) | instskip(SKIP_1) | instid1(VALU_DEP_2)
	v_lshlrev_b64 v[4:5], 1, v[0:1]
	v_add_nc_u32_e32 v0, s1, v0
	v_add_co_u32 v4, vcc_lo, s4, v4
	s_delay_alu instid0(VALU_DEP_3)
	v_add_co_ci_u32_e32 v5, vcc_lo, s5, v5, vcc_lo
	s_and_b32 vcc_lo, exec_lo, s0
	global_load_u16 v1, v[4:5], off
	s_waitcnt vmcnt(0)
	global_store_b16 v[2:3], v1, off
	v_add_co_u32 v2, s0, v2, s2
	s_delay_alu instid0(VALU_DEP_1)
	v_add_co_ci_u32_e64 v3, s0, s3, v3, s0
	s_cbranch_vccnz .LBB3_11
.LBB3_12:
	s_nop 0
	s_sendmsg sendmsg(MSG_DEALLOC_VGPRS)
	s_endpgm
	.section	.rodata,"a",@progbits
	.p2align	6, 0x0
	.amdhsa_kernel _ZN2at6native12_GLOBAL__N_128upsample_nearest1d_out_frameIN3c108BFloat16EXadL_ZNS0_37nearest_neighbor_compute_source_indexEfiiEEEEvPKT_mmmmPS5_f
		.amdhsa_group_segment_fixed_size 0
		.amdhsa_private_segment_fixed_size 0
		.amdhsa_kernarg_size 312
		.amdhsa_user_sgpr_count 15
		.amdhsa_user_sgpr_dispatch_ptr 0
		.amdhsa_user_sgpr_queue_ptr 0
		.amdhsa_user_sgpr_kernarg_segment_ptr 1
		.amdhsa_user_sgpr_dispatch_id 0
		.amdhsa_user_sgpr_private_segment_size 0
		.amdhsa_wavefront_size32 1
		.amdhsa_uses_dynamic_stack 0
		.amdhsa_enable_private_segment 0
		.amdhsa_system_sgpr_workgroup_id_x 1
		.amdhsa_system_sgpr_workgroup_id_y 0
		.amdhsa_system_sgpr_workgroup_id_z 0
		.amdhsa_system_sgpr_workgroup_info 0
		.amdhsa_system_vgpr_workitem_id 0
		.amdhsa_next_free_vgpr 13
		.amdhsa_next_free_sgpr 20
		.amdhsa_reserve_vcc 1
		.amdhsa_float_round_mode_32 0
		.amdhsa_float_round_mode_16_64 0
		.amdhsa_float_denorm_mode_32 3
		.amdhsa_float_denorm_mode_16_64 3
		.amdhsa_dx10_clamp 1
		.amdhsa_ieee_mode 1
		.amdhsa_fp16_overflow 0
		.amdhsa_workgroup_processor_mode 1
		.amdhsa_memory_ordered 1
		.amdhsa_forward_progress 0
		.amdhsa_shared_vgpr_count 0
		.amdhsa_exception_fp_ieee_invalid_op 0
		.amdhsa_exception_fp_denorm_src 0
		.amdhsa_exception_fp_ieee_div_zero 0
		.amdhsa_exception_fp_ieee_overflow 0
		.amdhsa_exception_fp_ieee_underflow 0
		.amdhsa_exception_fp_ieee_inexact 0
		.amdhsa_exception_int_div_zero 0
	.end_amdhsa_kernel
	.section	.text._ZN2at6native12_GLOBAL__N_128upsample_nearest1d_out_frameIN3c108BFloat16EXadL_ZNS0_37nearest_neighbor_compute_source_indexEfiiEEEEvPKT_mmmmPS5_f,"axG",@progbits,_ZN2at6native12_GLOBAL__N_128upsample_nearest1d_out_frameIN3c108BFloat16EXadL_ZNS0_37nearest_neighbor_compute_source_indexEfiiEEEEvPKT_mmmmPS5_f,comdat
.Lfunc_end3:
	.size	_ZN2at6native12_GLOBAL__N_128upsample_nearest1d_out_frameIN3c108BFloat16EXadL_ZNS0_37nearest_neighbor_compute_source_indexEfiiEEEEvPKT_mmmmPS5_f, .Lfunc_end3-_ZN2at6native12_GLOBAL__N_128upsample_nearest1d_out_frameIN3c108BFloat16EXadL_ZNS0_37nearest_neighbor_compute_source_indexEfiiEEEEvPKT_mmmmPS5_f
                                        ; -- End function
	.section	.AMDGPU.csdata,"",@progbits
; Kernel info:
; codeLenInByte = 2112
; NumSgprs: 22
; NumVgprs: 13
; ScratchSize: 0
; MemoryBound: 0
; FloatMode: 240
; IeeeMode: 1
; LDSByteSize: 0 bytes/workgroup (compile time only)
; SGPRBlocks: 2
; VGPRBlocks: 1
; NumSGPRsForWavesPerEU: 22
; NumVGPRsForWavesPerEU: 13
; Occupancy: 16
; WaveLimiterHint : 0
; COMPUTE_PGM_RSRC2:SCRATCH_EN: 0
; COMPUTE_PGM_RSRC2:USER_SGPR: 15
; COMPUTE_PGM_RSRC2:TRAP_HANDLER: 0
; COMPUTE_PGM_RSRC2:TGID_X_EN: 1
; COMPUTE_PGM_RSRC2:TGID_Y_EN: 0
; COMPUTE_PGM_RSRC2:TGID_Z_EN: 0
; COMPUTE_PGM_RSRC2:TIDIG_COMP_CNT: 0
	.section	.text._ZN2at6native12_GLOBAL__N_128upsample_nearest1d_out_frameIhXadL_ZNS0_37nearest_neighbor_compute_source_indexEfiiEEEEvPKT_mmmmPS3_f,"axG",@progbits,_ZN2at6native12_GLOBAL__N_128upsample_nearest1d_out_frameIhXadL_ZNS0_37nearest_neighbor_compute_source_indexEfiiEEEEvPKT_mmmmPS3_f,comdat
	.globl	_ZN2at6native12_GLOBAL__N_128upsample_nearest1d_out_frameIhXadL_ZNS0_37nearest_neighbor_compute_source_indexEfiiEEEEvPKT_mmmmPS3_f ; -- Begin function _ZN2at6native12_GLOBAL__N_128upsample_nearest1d_out_frameIhXadL_ZNS0_37nearest_neighbor_compute_source_indexEfiiEEEEvPKT_mmmmPS3_f
	.p2align	8
	.type	_ZN2at6native12_GLOBAL__N_128upsample_nearest1d_out_frameIhXadL_ZNS0_37nearest_neighbor_compute_source_indexEfiiEEEEvPKT_mmmmPS3_f,@function
_ZN2at6native12_GLOBAL__N_128upsample_nearest1d_out_frameIhXadL_ZNS0_37nearest_neighbor_compute_source_indexEfiiEEEEvPKT_mmmmPS3_f: ; @_ZN2at6native12_GLOBAL__N_128upsample_nearest1d_out_frameIhXadL_ZNS0_37nearest_neighbor_compute_source_indexEfiiEEEEvPKT_mmmmPS3_f
; %bb.0:
	s_clause 0x2
	s_load_b32 s2, s[0:1], 0x44
	s_load_b128 s[16:19], s[0:1], 0x20
	s_load_b256 s[4:11], s[0:1], 0x0
	s_waitcnt lgkmcnt(0)
	s_and_b32 s2, s2, 0xffff
	s_delay_alu instid0(SALU_CYCLE_1)
	v_mad_u64_u32 v[1:2], null, s15, s2, v[0:1]
	s_mul_i32 s2, s16, s9
	s_mul_hi_u32 s3, s16, s8
	s_mul_i32 s12, s16, s8
	s_add_i32 s2, s3, s2
	s_mul_i32 s3, s17, s8
	s_delay_alu instid0(SALU_CYCLE_1) | instskip(NEXT) | instid1(VALU_DEP_1)
	s_add_i32 s13, s2, s3
	v_ashrrev_i32_e32 v2, 31, v1
	s_mov_b32 s2, exec_lo
	s_delay_alu instid0(VALU_DEP_1)
	v_cmpx_gt_u64_e64 s[12:13], v[1:2]
	s_cbranch_execz .LBB4_12
; %bb.1:
	s_cmp_eq_u64 s[6:7], 0
	s_cbranch_scc1 .LBB4_12
; %bb.2:
	v_or_b32_e32 v4, s17, v2
	v_mov_b32_e32 v3, 0
	s_delay_alu instid0(VALU_DEP_1) | instskip(SKIP_1) | instid1(SALU_CYCLE_1)
	v_cmp_ne_u64_e32 vcc_lo, 0, v[3:4]
                                        ; implicit-def: $vgpr3_vgpr4
	s_and_saveexec_b32 s2, vcc_lo
	s_xor_b32 s3, exec_lo, s2
	s_cbranch_execz .LBB4_4
; %bb.3:
	v_cvt_f32_u32_e32 v0, s16
	v_cvt_f32_u32_e32 v3, s17
	s_sub_u32 s2, 0, s16
	s_subb_u32 s11, 0, s17
	s_delay_alu instid0(VALU_DEP_1) | instskip(NEXT) | instid1(VALU_DEP_1)
	v_fmamk_f32 v0, v3, 0x4f800000, v0
	v_rcp_f32_e32 v0, v0
	s_waitcnt_depctr 0xfff
	v_mul_f32_e32 v0, 0x5f7ffffc, v0
	s_delay_alu instid0(VALU_DEP_1) | instskip(NEXT) | instid1(VALU_DEP_1)
	v_mul_f32_e32 v3, 0x2f800000, v0
	v_trunc_f32_e32 v3, v3
	s_delay_alu instid0(VALU_DEP_1) | instskip(SKIP_1) | instid1(VALU_DEP_2)
	v_fmamk_f32 v0, v3, 0xcf800000, v0
	v_cvt_u32_f32_e32 v3, v3
	v_cvt_u32_f32_e32 v0, v0
	s_delay_alu instid0(VALU_DEP_2) | instskip(NEXT) | instid1(VALU_DEP_2)
	v_mul_lo_u32 v4, s2, v3
	v_mul_hi_u32 v5, s2, v0
	v_mul_lo_u32 v6, s11, v0
	s_delay_alu instid0(VALU_DEP_2) | instskip(SKIP_1) | instid1(VALU_DEP_2)
	v_add_nc_u32_e32 v4, v5, v4
	v_mul_lo_u32 v5, s2, v0
	v_add_nc_u32_e32 v4, v4, v6
	s_delay_alu instid0(VALU_DEP_2) | instskip(NEXT) | instid1(VALU_DEP_2)
	v_mul_hi_u32 v6, v0, v5
	v_mul_lo_u32 v7, v0, v4
	v_mul_hi_u32 v8, v0, v4
	v_mul_hi_u32 v9, v3, v5
	v_mul_lo_u32 v5, v3, v5
	v_mul_hi_u32 v10, v3, v4
	v_mul_lo_u32 v4, v3, v4
	v_add_co_u32 v6, vcc_lo, v6, v7
	v_add_co_ci_u32_e32 v7, vcc_lo, 0, v8, vcc_lo
	s_delay_alu instid0(VALU_DEP_2) | instskip(NEXT) | instid1(VALU_DEP_2)
	v_add_co_u32 v5, vcc_lo, v6, v5
	v_add_co_ci_u32_e32 v5, vcc_lo, v7, v9, vcc_lo
	v_add_co_ci_u32_e32 v6, vcc_lo, 0, v10, vcc_lo
	s_delay_alu instid0(VALU_DEP_2) | instskip(NEXT) | instid1(VALU_DEP_2)
	v_add_co_u32 v4, vcc_lo, v5, v4
	v_add_co_ci_u32_e32 v5, vcc_lo, 0, v6, vcc_lo
	s_delay_alu instid0(VALU_DEP_2) | instskip(NEXT) | instid1(VALU_DEP_2)
	v_add_co_u32 v0, vcc_lo, v0, v4
	v_add_co_ci_u32_e32 v3, vcc_lo, v3, v5, vcc_lo
	s_delay_alu instid0(VALU_DEP_2) | instskip(SKIP_1) | instid1(VALU_DEP_3)
	v_mul_hi_u32 v4, s2, v0
	v_mul_lo_u32 v6, s11, v0
	v_mul_lo_u32 v5, s2, v3
	s_delay_alu instid0(VALU_DEP_1) | instskip(SKIP_1) | instid1(VALU_DEP_2)
	v_add_nc_u32_e32 v4, v4, v5
	v_mul_lo_u32 v5, s2, v0
	v_add_nc_u32_e32 v4, v4, v6
	s_delay_alu instid0(VALU_DEP_2) | instskip(NEXT) | instid1(VALU_DEP_2)
	v_mul_hi_u32 v6, v0, v5
	v_mul_lo_u32 v7, v0, v4
	v_mul_hi_u32 v8, v0, v4
	v_mul_hi_u32 v9, v3, v5
	v_mul_lo_u32 v5, v3, v5
	v_mul_hi_u32 v10, v3, v4
	v_mul_lo_u32 v4, v3, v4
	v_add_co_u32 v6, vcc_lo, v6, v7
	v_add_co_ci_u32_e32 v7, vcc_lo, 0, v8, vcc_lo
	s_delay_alu instid0(VALU_DEP_2) | instskip(NEXT) | instid1(VALU_DEP_2)
	v_add_co_u32 v5, vcc_lo, v6, v5
	v_add_co_ci_u32_e32 v5, vcc_lo, v7, v9, vcc_lo
	v_add_co_ci_u32_e32 v6, vcc_lo, 0, v10, vcc_lo
	s_delay_alu instid0(VALU_DEP_2) | instskip(NEXT) | instid1(VALU_DEP_2)
	v_add_co_u32 v4, vcc_lo, v5, v4
	v_add_co_ci_u32_e32 v5, vcc_lo, 0, v6, vcc_lo
	s_delay_alu instid0(VALU_DEP_2) | instskip(NEXT) | instid1(VALU_DEP_2)
	v_add_co_u32 v0, vcc_lo, v0, v4
	v_add_co_ci_u32_e32 v9, vcc_lo, v3, v5, vcc_lo
	s_delay_alu instid0(VALU_DEP_2) | instskip(SKIP_1) | instid1(VALU_DEP_3)
	v_mul_hi_u32 v10, v1, v0
	v_mad_u64_u32 v[5:6], null, v2, v0, 0
	v_mad_u64_u32 v[3:4], null, v1, v9, 0
	;; [unrolled: 1-line block ×3, first 2 shown]
	s_delay_alu instid0(VALU_DEP_2) | instskip(NEXT) | instid1(VALU_DEP_3)
	v_add_co_u32 v0, vcc_lo, v10, v3
	v_add_co_ci_u32_e32 v3, vcc_lo, 0, v4, vcc_lo
	s_delay_alu instid0(VALU_DEP_2) | instskip(NEXT) | instid1(VALU_DEP_2)
	v_add_co_u32 v0, vcc_lo, v0, v5
	v_add_co_ci_u32_e32 v0, vcc_lo, v3, v6, vcc_lo
	v_add_co_ci_u32_e32 v3, vcc_lo, 0, v8, vcc_lo
	s_delay_alu instid0(VALU_DEP_2) | instskip(NEXT) | instid1(VALU_DEP_2)
	v_add_co_u32 v0, vcc_lo, v0, v7
	v_add_co_ci_u32_e32 v5, vcc_lo, 0, v3, vcc_lo
	s_delay_alu instid0(VALU_DEP_2) | instskip(SKIP_1) | instid1(VALU_DEP_3)
	v_mul_lo_u32 v6, s17, v0
	v_mad_u64_u32 v[3:4], null, s16, v0, 0
	v_mul_lo_u32 v7, s16, v5
	s_delay_alu instid0(VALU_DEP_2) | instskip(NEXT) | instid1(VALU_DEP_2)
	v_sub_co_u32 v3, vcc_lo, v1, v3
	v_add3_u32 v4, v4, v7, v6
	s_delay_alu instid0(VALU_DEP_1) | instskip(NEXT) | instid1(VALU_DEP_1)
	v_sub_nc_u32_e32 v6, v2, v4
	v_subrev_co_ci_u32_e64 v6, s2, s17, v6, vcc_lo
	v_add_co_u32 v7, s2, v0, 2
	s_delay_alu instid0(VALU_DEP_1) | instskip(SKIP_3) | instid1(VALU_DEP_3)
	v_add_co_ci_u32_e64 v8, s2, 0, v5, s2
	v_sub_co_u32 v9, s2, v3, s16
	v_sub_co_ci_u32_e32 v4, vcc_lo, v2, v4, vcc_lo
	v_subrev_co_ci_u32_e64 v6, s2, 0, v6, s2
	v_cmp_le_u32_e32 vcc_lo, s16, v9
	s_delay_alu instid0(VALU_DEP_3) | instskip(SKIP_1) | instid1(VALU_DEP_4)
	v_cmp_eq_u32_e64 s2, s17, v4
	v_cndmask_b32_e64 v9, 0, -1, vcc_lo
	v_cmp_le_u32_e32 vcc_lo, s17, v6
	v_cndmask_b32_e64 v10, 0, -1, vcc_lo
	v_cmp_le_u32_e32 vcc_lo, s16, v3
	;; [unrolled: 2-line block ×3, first 2 shown]
	v_cndmask_b32_e64 v11, 0, -1, vcc_lo
	v_cmp_eq_u32_e32 vcc_lo, s17, v6
	s_delay_alu instid0(VALU_DEP_2) | instskip(SKIP_3) | instid1(VALU_DEP_3)
	v_cndmask_b32_e64 v3, v11, v3, s2
	v_cndmask_b32_e32 v6, v10, v9, vcc_lo
	v_add_co_u32 v9, vcc_lo, v0, 1
	v_add_co_ci_u32_e32 v10, vcc_lo, 0, v5, vcc_lo
	v_cmp_ne_u32_e32 vcc_lo, 0, v6
	s_delay_alu instid0(VALU_DEP_2) | instskip(NEXT) | instid1(VALU_DEP_4)
	v_cndmask_b32_e32 v4, v10, v8, vcc_lo
	v_cndmask_b32_e32 v6, v9, v7, vcc_lo
	v_cmp_ne_u32_e32 vcc_lo, 0, v3
	s_delay_alu instid0(VALU_DEP_2)
	v_dual_cndmask_b32 v3, v0, v6 :: v_dual_cndmask_b32 v4, v5, v4
.LBB4_4:
	s_and_not1_saveexec_b32 s2, s3
	s_cbranch_execz .LBB4_6
; %bb.5:
	v_cvt_f32_u32_e32 v0, s16
	s_sub_i32 s3, 0, s16
	s_delay_alu instid0(VALU_DEP_1) | instskip(SKIP_2) | instid1(VALU_DEP_1)
	v_rcp_iflag_f32_e32 v0, v0
	s_waitcnt_depctr 0xfff
	v_mul_f32_e32 v0, 0x4f7ffffe, v0
	v_cvt_u32_f32_e32 v0, v0
	s_delay_alu instid0(VALU_DEP_1) | instskip(NEXT) | instid1(VALU_DEP_1)
	v_mul_lo_u32 v3, s3, v0
	v_mul_hi_u32 v3, v0, v3
	s_delay_alu instid0(VALU_DEP_1) | instskip(NEXT) | instid1(VALU_DEP_1)
	v_add_nc_u32_e32 v0, v0, v3
	v_mul_hi_u32 v0, v1, v0
	s_delay_alu instid0(VALU_DEP_1) | instskip(SKIP_1) | instid1(VALU_DEP_2)
	v_mul_lo_u32 v3, v0, s16
	v_add_nc_u32_e32 v4, 1, v0
	v_sub_nc_u32_e32 v3, v1, v3
	s_delay_alu instid0(VALU_DEP_1) | instskip(SKIP_1) | instid1(VALU_DEP_2)
	v_subrev_nc_u32_e32 v5, s16, v3
	v_cmp_le_u32_e32 vcc_lo, s16, v3
	v_dual_cndmask_b32 v3, v3, v5 :: v_dual_cndmask_b32 v0, v0, v4
	s_delay_alu instid0(VALU_DEP_1) | instskip(NEXT) | instid1(VALU_DEP_2)
	v_cmp_le_u32_e32 vcc_lo, s16, v3
	v_add_nc_u32_e32 v4, 1, v0
	s_delay_alu instid0(VALU_DEP_1)
	v_dual_cndmask_b32 v3, v0, v4 :: v_dual_mov_b32 v4, 0
.LBB4_6:
	s_or_b32 exec_lo, exec_lo, s2
	s_delay_alu instid0(VALU_DEP_1) | instskip(SKIP_1) | instid1(VALU_DEP_1)
	v_or_b32_e32 v6, s9, v4
	v_mov_b32_e32 v5, 0
	v_cmp_ne_u64_e32 vcc_lo, 0, v[5:6]
                                        ; implicit-def: $vgpr5_vgpr6
	s_and_saveexec_b32 s2, vcc_lo
	s_delay_alu instid0(SALU_CYCLE_1)
	s_xor_b32 s3, exec_lo, s2
	s_cbranch_execz .LBB4_8
; %bb.7:
	v_cvt_f32_u32_e32 v0, s8
	v_cvt_f32_u32_e32 v5, s9
	s_sub_u32 s2, 0, s8
	s_subb_u32 s11, 0, s9
	s_delay_alu instid0(VALU_DEP_1) | instskip(NEXT) | instid1(VALU_DEP_1)
	v_fmamk_f32 v0, v5, 0x4f800000, v0
	v_rcp_f32_e32 v0, v0
	s_waitcnt_depctr 0xfff
	v_mul_f32_e32 v0, 0x5f7ffffc, v0
	s_delay_alu instid0(VALU_DEP_1) | instskip(NEXT) | instid1(VALU_DEP_1)
	v_mul_f32_e32 v5, 0x2f800000, v0
	v_trunc_f32_e32 v5, v5
	s_delay_alu instid0(VALU_DEP_1) | instskip(SKIP_1) | instid1(VALU_DEP_2)
	v_fmamk_f32 v0, v5, 0xcf800000, v0
	v_cvt_u32_f32_e32 v5, v5
	v_cvt_u32_f32_e32 v0, v0
	s_delay_alu instid0(VALU_DEP_2) | instskip(NEXT) | instid1(VALU_DEP_2)
	v_mul_lo_u32 v6, s2, v5
	v_mul_hi_u32 v7, s2, v0
	v_mul_lo_u32 v8, s11, v0
	s_delay_alu instid0(VALU_DEP_2) | instskip(SKIP_1) | instid1(VALU_DEP_2)
	v_add_nc_u32_e32 v6, v7, v6
	v_mul_lo_u32 v7, s2, v0
	v_add_nc_u32_e32 v6, v6, v8
	s_delay_alu instid0(VALU_DEP_2) | instskip(NEXT) | instid1(VALU_DEP_2)
	v_mul_hi_u32 v8, v0, v7
	v_mul_lo_u32 v9, v0, v6
	v_mul_hi_u32 v10, v0, v6
	v_mul_hi_u32 v11, v5, v7
	v_mul_lo_u32 v7, v5, v7
	v_mul_hi_u32 v12, v5, v6
	v_mul_lo_u32 v6, v5, v6
	v_add_co_u32 v8, vcc_lo, v8, v9
	v_add_co_ci_u32_e32 v9, vcc_lo, 0, v10, vcc_lo
	s_delay_alu instid0(VALU_DEP_2) | instskip(NEXT) | instid1(VALU_DEP_2)
	v_add_co_u32 v7, vcc_lo, v8, v7
	v_add_co_ci_u32_e32 v7, vcc_lo, v9, v11, vcc_lo
	v_add_co_ci_u32_e32 v8, vcc_lo, 0, v12, vcc_lo
	s_delay_alu instid0(VALU_DEP_2) | instskip(NEXT) | instid1(VALU_DEP_2)
	v_add_co_u32 v6, vcc_lo, v7, v6
	v_add_co_ci_u32_e32 v7, vcc_lo, 0, v8, vcc_lo
	s_delay_alu instid0(VALU_DEP_2) | instskip(NEXT) | instid1(VALU_DEP_2)
	v_add_co_u32 v0, vcc_lo, v0, v6
	v_add_co_ci_u32_e32 v5, vcc_lo, v5, v7, vcc_lo
	s_delay_alu instid0(VALU_DEP_2) | instskip(SKIP_1) | instid1(VALU_DEP_3)
	v_mul_hi_u32 v6, s2, v0
	v_mul_lo_u32 v8, s11, v0
	v_mul_lo_u32 v7, s2, v5
	s_delay_alu instid0(VALU_DEP_1) | instskip(SKIP_1) | instid1(VALU_DEP_2)
	v_add_nc_u32_e32 v6, v6, v7
	v_mul_lo_u32 v7, s2, v0
	v_add_nc_u32_e32 v6, v6, v8
	s_delay_alu instid0(VALU_DEP_2) | instskip(NEXT) | instid1(VALU_DEP_2)
	v_mul_hi_u32 v8, v0, v7
	v_mul_lo_u32 v9, v0, v6
	v_mul_hi_u32 v10, v0, v6
	v_mul_hi_u32 v11, v5, v7
	v_mul_lo_u32 v7, v5, v7
	v_mul_hi_u32 v12, v5, v6
	v_mul_lo_u32 v6, v5, v6
	v_add_co_u32 v8, vcc_lo, v8, v9
	v_add_co_ci_u32_e32 v9, vcc_lo, 0, v10, vcc_lo
	s_delay_alu instid0(VALU_DEP_2) | instskip(NEXT) | instid1(VALU_DEP_2)
	v_add_co_u32 v7, vcc_lo, v8, v7
	v_add_co_ci_u32_e32 v7, vcc_lo, v9, v11, vcc_lo
	v_add_co_ci_u32_e32 v8, vcc_lo, 0, v12, vcc_lo
	s_delay_alu instid0(VALU_DEP_2) | instskip(NEXT) | instid1(VALU_DEP_2)
	v_add_co_u32 v6, vcc_lo, v7, v6
	v_add_co_ci_u32_e32 v7, vcc_lo, 0, v8, vcc_lo
	s_delay_alu instid0(VALU_DEP_2) | instskip(NEXT) | instid1(VALU_DEP_2)
	v_add_co_u32 v0, vcc_lo, v0, v6
	v_add_co_ci_u32_e32 v11, vcc_lo, v5, v7, vcc_lo
	s_delay_alu instid0(VALU_DEP_2) | instskip(SKIP_1) | instid1(VALU_DEP_3)
	v_mul_hi_u32 v12, v3, v0
	v_mad_u64_u32 v[7:8], null, v4, v0, 0
	v_mad_u64_u32 v[5:6], null, v3, v11, 0
	;; [unrolled: 1-line block ×3, first 2 shown]
	s_delay_alu instid0(VALU_DEP_2) | instskip(NEXT) | instid1(VALU_DEP_3)
	v_add_co_u32 v0, vcc_lo, v12, v5
	v_add_co_ci_u32_e32 v5, vcc_lo, 0, v6, vcc_lo
	s_delay_alu instid0(VALU_DEP_2) | instskip(NEXT) | instid1(VALU_DEP_2)
	v_add_co_u32 v0, vcc_lo, v0, v7
	v_add_co_ci_u32_e32 v0, vcc_lo, v5, v8, vcc_lo
	v_add_co_ci_u32_e32 v5, vcc_lo, 0, v10, vcc_lo
	s_delay_alu instid0(VALU_DEP_2) | instskip(NEXT) | instid1(VALU_DEP_2)
	v_add_co_u32 v0, vcc_lo, v0, v9
	v_add_co_ci_u32_e32 v7, vcc_lo, 0, v5, vcc_lo
	s_delay_alu instid0(VALU_DEP_2) | instskip(SKIP_1) | instid1(VALU_DEP_3)
	v_mul_lo_u32 v8, s9, v0
	v_mad_u64_u32 v[5:6], null, s8, v0, 0
	v_mul_lo_u32 v0, s8, v7
	s_delay_alu instid0(VALU_DEP_2) | instskip(NEXT) | instid1(VALU_DEP_2)
	v_sub_co_u32 v5, vcc_lo, v3, v5
	v_add3_u32 v0, v6, v0, v8
	s_delay_alu instid0(VALU_DEP_1) | instskip(NEXT) | instid1(VALU_DEP_1)
	v_sub_nc_u32_e32 v6, v4, v0
	v_subrev_co_ci_u32_e64 v6, s2, s9, v6, vcc_lo
	s_delay_alu instid0(VALU_DEP_4) | instskip(SKIP_1) | instid1(VALU_DEP_3)
	v_sub_co_u32 v7, s2, v5, s8
	v_sub_co_ci_u32_e32 v0, vcc_lo, v4, v0, vcc_lo
	v_subrev_co_ci_u32_e64 v6, s2, 0, v6, s2
	s_delay_alu instid0(VALU_DEP_3) | instskip(SKIP_1) | instid1(VALU_DEP_3)
	v_cmp_le_u32_e32 vcc_lo, s8, v7
	v_cndmask_b32_e64 v4, 0, -1, vcc_lo
	v_cmp_le_u32_e32 vcc_lo, s9, v6
	v_cndmask_b32_e64 v8, 0, -1, vcc_lo
	;; [unrolled: 2-line block ×4, first 2 shown]
	v_cmp_eq_u32_e32 vcc_lo, s9, v6
	v_cndmask_b32_e32 v4, v8, v4, vcc_lo
	v_sub_co_u32 v6, vcc_lo, v7, s8
	v_cmp_eq_u32_e32 vcc_lo, s9, v0
	v_cndmask_b32_e32 v0, v10, v9, vcc_lo
	s_delay_alu instid0(VALU_DEP_4) | instskip(NEXT) | instid1(VALU_DEP_4)
	v_cmp_ne_u32_e32 vcc_lo, 0, v4
	v_cndmask_b32_e32 v4, v7, v6, vcc_lo
	s_delay_alu instid0(VALU_DEP_3) | instskip(NEXT) | instid1(VALU_DEP_2)
	v_cmp_ne_u32_e32 vcc_lo, 0, v0
	v_cndmask_b32_e32 v5, v5, v4, vcc_lo
.LBB4_8:
	s_and_not1_saveexec_b32 s2, s3
	s_cbranch_execz .LBB4_10
; %bb.9:
	v_cvt_f32_u32_e32 v0, s8
	s_sub_i32 s3, 0, s8
	s_delay_alu instid0(VALU_DEP_1) | instskip(SKIP_2) | instid1(VALU_DEP_1)
	v_rcp_iflag_f32_e32 v0, v0
	s_waitcnt_depctr 0xfff
	v_mul_f32_e32 v0, 0x4f7ffffe, v0
	v_cvt_u32_f32_e32 v0, v0
	s_delay_alu instid0(VALU_DEP_1) | instskip(NEXT) | instid1(VALU_DEP_1)
	v_mul_lo_u32 v4, s3, v0
	v_mul_hi_u32 v4, v0, v4
	s_delay_alu instid0(VALU_DEP_1) | instskip(NEXT) | instid1(VALU_DEP_1)
	v_add_nc_u32_e32 v0, v0, v4
	v_mul_hi_u32 v0, v3, v0
	s_delay_alu instid0(VALU_DEP_1) | instskip(NEXT) | instid1(VALU_DEP_1)
	v_mul_lo_u32 v0, v0, s8
	v_sub_nc_u32_e32 v0, v3, v0
	s_delay_alu instid0(VALU_DEP_1) | instskip(SKIP_1) | instid1(VALU_DEP_2)
	v_subrev_nc_u32_e32 v4, s8, v0
	v_cmp_le_u32_e32 vcc_lo, s8, v0
	v_cndmask_b32_e32 v0, v0, v4, vcc_lo
	s_delay_alu instid0(VALU_DEP_1) | instskip(SKIP_1) | instid1(VALU_DEP_2)
	v_subrev_nc_u32_e32 v4, s8, v0
	v_cmp_le_u32_e32 vcc_lo, s8, v0
	v_cndmask_b32_e32 v5, v0, v4, vcc_lo
.LBB4_10:
	s_or_b32 exec_lo, exec_lo, s2
	s_load_b32 s0, s[0:1], 0x30
	v_mul_lo_u32 v0, v3, s16
	s_mul_i32 s1, s10, s8
	s_bfe_i64 s[2:3], s[12:13], 0x200000
	s_mov_b64 s[8:9], 0
	s_delay_alu instid0(VALU_DEP_1) | instskip(NEXT) | instid1(VALU_DEP_1)
	v_sub_nc_u32_e32 v0, v1, v0
	v_cvt_f32_i32_e32 v0, v0
	s_waitcnt lgkmcnt(0)
	s_delay_alu instid0(VALU_DEP_1) | instskip(SKIP_1) | instid1(VALU_DEP_1)
	v_mul_f32_e32 v0, s0, v0
	s_add_i32 s0, s10, -1
	v_floor_f32_e32 v0, v0
	s_delay_alu instid0(VALU_DEP_1) | instskip(NEXT) | instid1(VALU_DEP_1)
	v_cvt_i32_f32_e32 v0, v0
	v_min_i32_e32 v0, s0, v0
	s_delay_alu instid0(VALU_DEP_1)
	v_mad_u64_u32 v[3:4], null, v5, s10, v[0:1]
	v_add_co_u32 v0, vcc_lo, s18, v1
	v_add_co_ci_u32_e32 v1, vcc_lo, s19, v2, vcc_lo
	.p2align	6
.LBB4_11:                               ; =>This Inner Loop Header: Depth=1
	s_delay_alu instid0(VALU_DEP_3) | instskip(SKIP_3) | instid1(VALU_DEP_2)
	v_ashrrev_i32_e32 v2, 31, v3
	v_add_co_u32 v4, vcc_lo, s4, v3
	s_add_u32 s8, s8, 1
	s_addc_u32 s9, s9, 0
	v_add_co_ci_u32_e32 v5, vcc_lo, s5, v2, vcc_lo
	v_cmp_lt_u64_e64 s0, s[8:9], s[6:7]
	v_add_nc_u32_e32 v3, s1, v3
	global_load_u8 v2, v[4:5], off
	s_and_b32 vcc_lo, exec_lo, s0
	s_waitcnt vmcnt(0)
	global_store_b8 v[0:1], v2, off
	v_add_co_u32 v0, s0, v0, s2
	s_delay_alu instid0(VALU_DEP_1)
	v_add_co_ci_u32_e64 v1, s0, s3, v1, s0
	s_cbranch_vccnz .LBB4_11
.LBB4_12:
	s_nop 0
	s_sendmsg sendmsg(MSG_DEALLOC_VGPRS)
	s_endpgm
	.section	.rodata,"a",@progbits
	.p2align	6, 0x0
	.amdhsa_kernel _ZN2at6native12_GLOBAL__N_128upsample_nearest1d_out_frameIhXadL_ZNS0_37nearest_neighbor_compute_source_indexEfiiEEEEvPKT_mmmmPS3_f
		.amdhsa_group_segment_fixed_size 0
		.amdhsa_private_segment_fixed_size 0
		.amdhsa_kernarg_size 312
		.amdhsa_user_sgpr_count 15
		.amdhsa_user_sgpr_dispatch_ptr 0
		.amdhsa_user_sgpr_queue_ptr 0
		.amdhsa_user_sgpr_kernarg_segment_ptr 1
		.amdhsa_user_sgpr_dispatch_id 0
		.amdhsa_user_sgpr_private_segment_size 0
		.amdhsa_wavefront_size32 1
		.amdhsa_uses_dynamic_stack 0
		.amdhsa_enable_private_segment 0
		.amdhsa_system_sgpr_workgroup_id_x 1
		.amdhsa_system_sgpr_workgroup_id_y 0
		.amdhsa_system_sgpr_workgroup_id_z 0
		.amdhsa_system_sgpr_workgroup_info 0
		.amdhsa_system_vgpr_workitem_id 0
		.amdhsa_next_free_vgpr 13
		.amdhsa_next_free_sgpr 20
		.amdhsa_reserve_vcc 1
		.amdhsa_float_round_mode_32 0
		.amdhsa_float_round_mode_16_64 0
		.amdhsa_float_denorm_mode_32 3
		.amdhsa_float_denorm_mode_16_64 3
		.amdhsa_dx10_clamp 1
		.amdhsa_ieee_mode 1
		.amdhsa_fp16_overflow 0
		.amdhsa_workgroup_processor_mode 1
		.amdhsa_memory_ordered 1
		.amdhsa_forward_progress 0
		.amdhsa_shared_vgpr_count 0
		.amdhsa_exception_fp_ieee_invalid_op 0
		.amdhsa_exception_fp_denorm_src 0
		.amdhsa_exception_fp_ieee_div_zero 0
		.amdhsa_exception_fp_ieee_overflow 0
		.amdhsa_exception_fp_ieee_underflow 0
		.amdhsa_exception_fp_ieee_inexact 0
		.amdhsa_exception_int_div_zero 0
	.end_amdhsa_kernel
	.section	.text._ZN2at6native12_GLOBAL__N_128upsample_nearest1d_out_frameIhXadL_ZNS0_37nearest_neighbor_compute_source_indexEfiiEEEEvPKT_mmmmPS3_f,"axG",@progbits,_ZN2at6native12_GLOBAL__N_128upsample_nearest1d_out_frameIhXadL_ZNS0_37nearest_neighbor_compute_source_indexEfiiEEEEvPKT_mmmmPS3_f,comdat
.Lfunc_end4:
	.size	_ZN2at6native12_GLOBAL__N_128upsample_nearest1d_out_frameIhXadL_ZNS0_37nearest_neighbor_compute_source_indexEfiiEEEEvPKT_mmmmPS3_f, .Lfunc_end4-_ZN2at6native12_GLOBAL__N_128upsample_nearest1d_out_frameIhXadL_ZNS0_37nearest_neighbor_compute_source_indexEfiiEEEEvPKT_mmmmPS3_f
                                        ; -- End function
	.section	.AMDGPU.csdata,"",@progbits
; Kernel info:
; codeLenInByte = 2084
; NumSgprs: 22
; NumVgprs: 13
; ScratchSize: 0
; MemoryBound: 0
; FloatMode: 240
; IeeeMode: 1
; LDSByteSize: 0 bytes/workgroup (compile time only)
; SGPRBlocks: 2
; VGPRBlocks: 1
; NumSGPRsForWavesPerEU: 22
; NumVGPRsForWavesPerEU: 13
; Occupancy: 16
; WaveLimiterHint : 0
; COMPUTE_PGM_RSRC2:SCRATCH_EN: 0
; COMPUTE_PGM_RSRC2:USER_SGPR: 15
; COMPUTE_PGM_RSRC2:TRAP_HANDLER: 0
; COMPUTE_PGM_RSRC2:TGID_X_EN: 1
; COMPUTE_PGM_RSRC2:TGID_Y_EN: 0
; COMPUTE_PGM_RSRC2:TGID_Z_EN: 0
; COMPUTE_PGM_RSRC2:TIDIG_COMP_CNT: 0
	.section	.text._ZN2at6native12_GLOBAL__N_128upsample_nearest1d_out_frameIdXadL_ZNS0_43nearest_neighbor_exact_compute_source_indexEfiiEEEEvPKT_mmmmPS3_f,"axG",@progbits,_ZN2at6native12_GLOBAL__N_128upsample_nearest1d_out_frameIdXadL_ZNS0_43nearest_neighbor_exact_compute_source_indexEfiiEEEEvPKT_mmmmPS3_f,comdat
	.globl	_ZN2at6native12_GLOBAL__N_128upsample_nearest1d_out_frameIdXadL_ZNS0_43nearest_neighbor_exact_compute_source_indexEfiiEEEEvPKT_mmmmPS3_f ; -- Begin function _ZN2at6native12_GLOBAL__N_128upsample_nearest1d_out_frameIdXadL_ZNS0_43nearest_neighbor_exact_compute_source_indexEfiiEEEEvPKT_mmmmPS3_f
	.p2align	8
	.type	_ZN2at6native12_GLOBAL__N_128upsample_nearest1d_out_frameIdXadL_ZNS0_43nearest_neighbor_exact_compute_source_indexEfiiEEEEvPKT_mmmmPS3_f,@function
_ZN2at6native12_GLOBAL__N_128upsample_nearest1d_out_frameIdXadL_ZNS0_43nearest_neighbor_exact_compute_source_indexEfiiEEEEvPKT_mmmmPS3_f: ; @_ZN2at6native12_GLOBAL__N_128upsample_nearest1d_out_frameIdXadL_ZNS0_43nearest_neighbor_exact_compute_source_indexEfiiEEEEvPKT_mmmmPS3_f
; %bb.0:
	s_clause 0x2
	s_load_b32 s2, s[0:1], 0x44
	s_load_b128 s[16:19], s[0:1], 0x20
	s_load_b256 s[4:11], s[0:1], 0x0
	s_waitcnt lgkmcnt(0)
	s_and_b32 s2, s2, 0xffff
	s_delay_alu instid0(SALU_CYCLE_1)
	v_mad_u64_u32 v[1:2], null, s15, s2, v[0:1]
	s_mul_i32 s2, s16, s9
	s_mul_hi_u32 s3, s16, s8
	s_mul_i32 s12, s16, s8
	s_add_i32 s2, s3, s2
	s_mul_i32 s3, s17, s8
	s_delay_alu instid0(SALU_CYCLE_1) | instskip(NEXT) | instid1(VALU_DEP_1)
	s_add_i32 s13, s2, s3
	v_ashrrev_i32_e32 v2, 31, v1
	s_mov_b32 s2, exec_lo
	s_delay_alu instid0(VALU_DEP_1)
	v_cmpx_gt_u64_e64 s[12:13], v[1:2]
	s_cbranch_execz .LBB5_12
; %bb.1:
	s_cmp_eq_u64 s[6:7], 0
	s_cbranch_scc1 .LBB5_12
; %bb.2:
	v_or_b32_e32 v4, s17, v2
	v_mov_b32_e32 v3, 0
	s_delay_alu instid0(VALU_DEP_1) | instskip(SKIP_1) | instid1(SALU_CYCLE_1)
	v_cmp_ne_u64_e32 vcc_lo, 0, v[3:4]
                                        ; implicit-def: $vgpr3_vgpr4
	s_and_saveexec_b32 s2, vcc_lo
	s_xor_b32 s3, exec_lo, s2
	s_cbranch_execz .LBB5_4
; %bb.3:
	v_cvt_f32_u32_e32 v0, s16
	v_cvt_f32_u32_e32 v3, s17
	s_sub_u32 s2, 0, s16
	s_subb_u32 s11, 0, s17
	s_delay_alu instid0(VALU_DEP_1) | instskip(NEXT) | instid1(VALU_DEP_1)
	v_fmamk_f32 v0, v3, 0x4f800000, v0
	v_rcp_f32_e32 v0, v0
	s_waitcnt_depctr 0xfff
	v_mul_f32_e32 v0, 0x5f7ffffc, v0
	s_delay_alu instid0(VALU_DEP_1) | instskip(NEXT) | instid1(VALU_DEP_1)
	v_mul_f32_e32 v3, 0x2f800000, v0
	v_trunc_f32_e32 v3, v3
	s_delay_alu instid0(VALU_DEP_1) | instskip(SKIP_1) | instid1(VALU_DEP_2)
	v_fmamk_f32 v0, v3, 0xcf800000, v0
	v_cvt_u32_f32_e32 v3, v3
	v_cvt_u32_f32_e32 v0, v0
	s_delay_alu instid0(VALU_DEP_2) | instskip(NEXT) | instid1(VALU_DEP_2)
	v_mul_lo_u32 v4, s2, v3
	v_mul_hi_u32 v5, s2, v0
	v_mul_lo_u32 v6, s11, v0
	s_delay_alu instid0(VALU_DEP_2) | instskip(SKIP_1) | instid1(VALU_DEP_2)
	v_add_nc_u32_e32 v4, v5, v4
	v_mul_lo_u32 v5, s2, v0
	v_add_nc_u32_e32 v4, v4, v6
	s_delay_alu instid0(VALU_DEP_2) | instskip(NEXT) | instid1(VALU_DEP_2)
	v_mul_hi_u32 v6, v0, v5
	v_mul_lo_u32 v7, v0, v4
	v_mul_hi_u32 v8, v0, v4
	v_mul_hi_u32 v9, v3, v5
	v_mul_lo_u32 v5, v3, v5
	v_mul_hi_u32 v10, v3, v4
	v_mul_lo_u32 v4, v3, v4
	v_add_co_u32 v6, vcc_lo, v6, v7
	v_add_co_ci_u32_e32 v7, vcc_lo, 0, v8, vcc_lo
	s_delay_alu instid0(VALU_DEP_2) | instskip(NEXT) | instid1(VALU_DEP_2)
	v_add_co_u32 v5, vcc_lo, v6, v5
	v_add_co_ci_u32_e32 v5, vcc_lo, v7, v9, vcc_lo
	v_add_co_ci_u32_e32 v6, vcc_lo, 0, v10, vcc_lo
	s_delay_alu instid0(VALU_DEP_2) | instskip(NEXT) | instid1(VALU_DEP_2)
	v_add_co_u32 v4, vcc_lo, v5, v4
	v_add_co_ci_u32_e32 v5, vcc_lo, 0, v6, vcc_lo
	s_delay_alu instid0(VALU_DEP_2) | instskip(NEXT) | instid1(VALU_DEP_2)
	v_add_co_u32 v0, vcc_lo, v0, v4
	v_add_co_ci_u32_e32 v3, vcc_lo, v3, v5, vcc_lo
	s_delay_alu instid0(VALU_DEP_2) | instskip(SKIP_1) | instid1(VALU_DEP_3)
	v_mul_hi_u32 v4, s2, v0
	v_mul_lo_u32 v6, s11, v0
	v_mul_lo_u32 v5, s2, v3
	s_delay_alu instid0(VALU_DEP_1) | instskip(SKIP_1) | instid1(VALU_DEP_2)
	v_add_nc_u32_e32 v4, v4, v5
	v_mul_lo_u32 v5, s2, v0
	v_add_nc_u32_e32 v4, v4, v6
	s_delay_alu instid0(VALU_DEP_2) | instskip(NEXT) | instid1(VALU_DEP_2)
	v_mul_hi_u32 v6, v0, v5
	v_mul_lo_u32 v7, v0, v4
	v_mul_hi_u32 v8, v0, v4
	v_mul_hi_u32 v9, v3, v5
	v_mul_lo_u32 v5, v3, v5
	v_mul_hi_u32 v10, v3, v4
	v_mul_lo_u32 v4, v3, v4
	v_add_co_u32 v6, vcc_lo, v6, v7
	v_add_co_ci_u32_e32 v7, vcc_lo, 0, v8, vcc_lo
	s_delay_alu instid0(VALU_DEP_2) | instskip(NEXT) | instid1(VALU_DEP_2)
	v_add_co_u32 v5, vcc_lo, v6, v5
	v_add_co_ci_u32_e32 v5, vcc_lo, v7, v9, vcc_lo
	v_add_co_ci_u32_e32 v6, vcc_lo, 0, v10, vcc_lo
	s_delay_alu instid0(VALU_DEP_2) | instskip(NEXT) | instid1(VALU_DEP_2)
	v_add_co_u32 v4, vcc_lo, v5, v4
	v_add_co_ci_u32_e32 v5, vcc_lo, 0, v6, vcc_lo
	s_delay_alu instid0(VALU_DEP_2) | instskip(NEXT) | instid1(VALU_DEP_2)
	v_add_co_u32 v0, vcc_lo, v0, v4
	v_add_co_ci_u32_e32 v9, vcc_lo, v3, v5, vcc_lo
	s_delay_alu instid0(VALU_DEP_2) | instskip(SKIP_1) | instid1(VALU_DEP_3)
	v_mul_hi_u32 v10, v1, v0
	v_mad_u64_u32 v[5:6], null, v2, v0, 0
	v_mad_u64_u32 v[3:4], null, v1, v9, 0
	;; [unrolled: 1-line block ×3, first 2 shown]
	s_delay_alu instid0(VALU_DEP_2) | instskip(NEXT) | instid1(VALU_DEP_3)
	v_add_co_u32 v0, vcc_lo, v10, v3
	v_add_co_ci_u32_e32 v3, vcc_lo, 0, v4, vcc_lo
	s_delay_alu instid0(VALU_DEP_2) | instskip(NEXT) | instid1(VALU_DEP_2)
	v_add_co_u32 v0, vcc_lo, v0, v5
	v_add_co_ci_u32_e32 v0, vcc_lo, v3, v6, vcc_lo
	v_add_co_ci_u32_e32 v3, vcc_lo, 0, v8, vcc_lo
	s_delay_alu instid0(VALU_DEP_2) | instskip(NEXT) | instid1(VALU_DEP_2)
	v_add_co_u32 v0, vcc_lo, v0, v7
	v_add_co_ci_u32_e32 v5, vcc_lo, 0, v3, vcc_lo
	s_delay_alu instid0(VALU_DEP_2) | instskip(SKIP_1) | instid1(VALU_DEP_3)
	v_mul_lo_u32 v6, s17, v0
	v_mad_u64_u32 v[3:4], null, s16, v0, 0
	v_mul_lo_u32 v7, s16, v5
	s_delay_alu instid0(VALU_DEP_2) | instskip(NEXT) | instid1(VALU_DEP_2)
	v_sub_co_u32 v3, vcc_lo, v1, v3
	v_add3_u32 v4, v4, v7, v6
	s_delay_alu instid0(VALU_DEP_1) | instskip(NEXT) | instid1(VALU_DEP_1)
	v_sub_nc_u32_e32 v6, v2, v4
	v_subrev_co_ci_u32_e64 v6, s2, s17, v6, vcc_lo
	v_add_co_u32 v7, s2, v0, 2
	s_delay_alu instid0(VALU_DEP_1) | instskip(SKIP_3) | instid1(VALU_DEP_3)
	v_add_co_ci_u32_e64 v8, s2, 0, v5, s2
	v_sub_co_u32 v9, s2, v3, s16
	v_sub_co_ci_u32_e32 v4, vcc_lo, v2, v4, vcc_lo
	v_subrev_co_ci_u32_e64 v6, s2, 0, v6, s2
	v_cmp_le_u32_e32 vcc_lo, s16, v9
	s_delay_alu instid0(VALU_DEP_3) | instskip(SKIP_1) | instid1(VALU_DEP_4)
	v_cmp_eq_u32_e64 s2, s17, v4
	v_cndmask_b32_e64 v9, 0, -1, vcc_lo
	v_cmp_le_u32_e32 vcc_lo, s17, v6
	v_cndmask_b32_e64 v10, 0, -1, vcc_lo
	v_cmp_le_u32_e32 vcc_lo, s16, v3
	;; [unrolled: 2-line block ×3, first 2 shown]
	v_cndmask_b32_e64 v11, 0, -1, vcc_lo
	v_cmp_eq_u32_e32 vcc_lo, s17, v6
	s_delay_alu instid0(VALU_DEP_2) | instskip(SKIP_3) | instid1(VALU_DEP_3)
	v_cndmask_b32_e64 v3, v11, v3, s2
	v_cndmask_b32_e32 v6, v10, v9, vcc_lo
	v_add_co_u32 v9, vcc_lo, v0, 1
	v_add_co_ci_u32_e32 v10, vcc_lo, 0, v5, vcc_lo
	v_cmp_ne_u32_e32 vcc_lo, 0, v6
	s_delay_alu instid0(VALU_DEP_2) | instskip(NEXT) | instid1(VALU_DEP_4)
	v_cndmask_b32_e32 v4, v10, v8, vcc_lo
	v_cndmask_b32_e32 v6, v9, v7, vcc_lo
	v_cmp_ne_u32_e32 vcc_lo, 0, v3
	s_delay_alu instid0(VALU_DEP_2)
	v_dual_cndmask_b32 v3, v0, v6 :: v_dual_cndmask_b32 v4, v5, v4
.LBB5_4:
	s_and_not1_saveexec_b32 s2, s3
	s_cbranch_execz .LBB5_6
; %bb.5:
	v_cvt_f32_u32_e32 v0, s16
	s_sub_i32 s3, 0, s16
	s_delay_alu instid0(VALU_DEP_1) | instskip(SKIP_2) | instid1(VALU_DEP_1)
	v_rcp_iflag_f32_e32 v0, v0
	s_waitcnt_depctr 0xfff
	v_mul_f32_e32 v0, 0x4f7ffffe, v0
	v_cvt_u32_f32_e32 v0, v0
	s_delay_alu instid0(VALU_DEP_1) | instskip(NEXT) | instid1(VALU_DEP_1)
	v_mul_lo_u32 v3, s3, v0
	v_mul_hi_u32 v3, v0, v3
	s_delay_alu instid0(VALU_DEP_1) | instskip(NEXT) | instid1(VALU_DEP_1)
	v_add_nc_u32_e32 v0, v0, v3
	v_mul_hi_u32 v0, v1, v0
	s_delay_alu instid0(VALU_DEP_1) | instskip(SKIP_1) | instid1(VALU_DEP_2)
	v_mul_lo_u32 v3, v0, s16
	v_add_nc_u32_e32 v4, 1, v0
	v_sub_nc_u32_e32 v3, v1, v3
	s_delay_alu instid0(VALU_DEP_1) | instskip(SKIP_1) | instid1(VALU_DEP_2)
	v_subrev_nc_u32_e32 v5, s16, v3
	v_cmp_le_u32_e32 vcc_lo, s16, v3
	v_dual_cndmask_b32 v3, v3, v5 :: v_dual_cndmask_b32 v0, v0, v4
	s_delay_alu instid0(VALU_DEP_1) | instskip(NEXT) | instid1(VALU_DEP_2)
	v_cmp_le_u32_e32 vcc_lo, s16, v3
	v_add_nc_u32_e32 v4, 1, v0
	s_delay_alu instid0(VALU_DEP_1)
	v_dual_cndmask_b32 v3, v0, v4 :: v_dual_mov_b32 v4, 0
.LBB5_6:
	s_or_b32 exec_lo, exec_lo, s2
	s_delay_alu instid0(VALU_DEP_1) | instskip(SKIP_1) | instid1(VALU_DEP_1)
	v_or_b32_e32 v6, s9, v4
	v_mov_b32_e32 v5, 0
	v_cmp_ne_u64_e32 vcc_lo, 0, v[5:6]
                                        ; implicit-def: $vgpr5_vgpr6
	s_and_saveexec_b32 s2, vcc_lo
	s_delay_alu instid0(SALU_CYCLE_1)
	s_xor_b32 s3, exec_lo, s2
	s_cbranch_execz .LBB5_8
; %bb.7:
	v_cvt_f32_u32_e32 v0, s8
	v_cvt_f32_u32_e32 v5, s9
	s_sub_u32 s2, 0, s8
	s_subb_u32 s11, 0, s9
	s_delay_alu instid0(VALU_DEP_1) | instskip(NEXT) | instid1(VALU_DEP_1)
	v_fmamk_f32 v0, v5, 0x4f800000, v0
	v_rcp_f32_e32 v0, v0
	s_waitcnt_depctr 0xfff
	v_mul_f32_e32 v0, 0x5f7ffffc, v0
	s_delay_alu instid0(VALU_DEP_1) | instskip(NEXT) | instid1(VALU_DEP_1)
	v_mul_f32_e32 v5, 0x2f800000, v0
	v_trunc_f32_e32 v5, v5
	s_delay_alu instid0(VALU_DEP_1) | instskip(SKIP_1) | instid1(VALU_DEP_2)
	v_fmamk_f32 v0, v5, 0xcf800000, v0
	v_cvt_u32_f32_e32 v5, v5
	v_cvt_u32_f32_e32 v0, v0
	s_delay_alu instid0(VALU_DEP_2) | instskip(NEXT) | instid1(VALU_DEP_2)
	v_mul_lo_u32 v6, s2, v5
	v_mul_hi_u32 v7, s2, v0
	v_mul_lo_u32 v8, s11, v0
	s_delay_alu instid0(VALU_DEP_2) | instskip(SKIP_1) | instid1(VALU_DEP_2)
	v_add_nc_u32_e32 v6, v7, v6
	v_mul_lo_u32 v7, s2, v0
	v_add_nc_u32_e32 v6, v6, v8
	s_delay_alu instid0(VALU_DEP_2) | instskip(NEXT) | instid1(VALU_DEP_2)
	v_mul_hi_u32 v8, v0, v7
	v_mul_lo_u32 v9, v0, v6
	v_mul_hi_u32 v10, v0, v6
	v_mul_hi_u32 v11, v5, v7
	v_mul_lo_u32 v7, v5, v7
	v_mul_hi_u32 v12, v5, v6
	v_mul_lo_u32 v6, v5, v6
	v_add_co_u32 v8, vcc_lo, v8, v9
	v_add_co_ci_u32_e32 v9, vcc_lo, 0, v10, vcc_lo
	s_delay_alu instid0(VALU_DEP_2) | instskip(NEXT) | instid1(VALU_DEP_2)
	v_add_co_u32 v7, vcc_lo, v8, v7
	v_add_co_ci_u32_e32 v7, vcc_lo, v9, v11, vcc_lo
	v_add_co_ci_u32_e32 v8, vcc_lo, 0, v12, vcc_lo
	s_delay_alu instid0(VALU_DEP_2) | instskip(NEXT) | instid1(VALU_DEP_2)
	v_add_co_u32 v6, vcc_lo, v7, v6
	v_add_co_ci_u32_e32 v7, vcc_lo, 0, v8, vcc_lo
	s_delay_alu instid0(VALU_DEP_2) | instskip(NEXT) | instid1(VALU_DEP_2)
	v_add_co_u32 v0, vcc_lo, v0, v6
	v_add_co_ci_u32_e32 v5, vcc_lo, v5, v7, vcc_lo
	s_delay_alu instid0(VALU_DEP_2) | instskip(SKIP_1) | instid1(VALU_DEP_3)
	v_mul_hi_u32 v6, s2, v0
	v_mul_lo_u32 v8, s11, v0
	v_mul_lo_u32 v7, s2, v5
	s_delay_alu instid0(VALU_DEP_1) | instskip(SKIP_1) | instid1(VALU_DEP_2)
	v_add_nc_u32_e32 v6, v6, v7
	v_mul_lo_u32 v7, s2, v0
	v_add_nc_u32_e32 v6, v6, v8
	s_delay_alu instid0(VALU_DEP_2) | instskip(NEXT) | instid1(VALU_DEP_2)
	v_mul_hi_u32 v8, v0, v7
	v_mul_lo_u32 v9, v0, v6
	v_mul_hi_u32 v10, v0, v6
	v_mul_hi_u32 v11, v5, v7
	v_mul_lo_u32 v7, v5, v7
	v_mul_hi_u32 v12, v5, v6
	v_mul_lo_u32 v6, v5, v6
	v_add_co_u32 v8, vcc_lo, v8, v9
	v_add_co_ci_u32_e32 v9, vcc_lo, 0, v10, vcc_lo
	s_delay_alu instid0(VALU_DEP_2) | instskip(NEXT) | instid1(VALU_DEP_2)
	v_add_co_u32 v7, vcc_lo, v8, v7
	v_add_co_ci_u32_e32 v7, vcc_lo, v9, v11, vcc_lo
	v_add_co_ci_u32_e32 v8, vcc_lo, 0, v12, vcc_lo
	s_delay_alu instid0(VALU_DEP_2) | instskip(NEXT) | instid1(VALU_DEP_2)
	v_add_co_u32 v6, vcc_lo, v7, v6
	v_add_co_ci_u32_e32 v7, vcc_lo, 0, v8, vcc_lo
	s_delay_alu instid0(VALU_DEP_2) | instskip(NEXT) | instid1(VALU_DEP_2)
	v_add_co_u32 v0, vcc_lo, v0, v6
	v_add_co_ci_u32_e32 v11, vcc_lo, v5, v7, vcc_lo
	s_delay_alu instid0(VALU_DEP_2) | instskip(SKIP_1) | instid1(VALU_DEP_3)
	v_mul_hi_u32 v12, v3, v0
	v_mad_u64_u32 v[7:8], null, v4, v0, 0
	v_mad_u64_u32 v[5:6], null, v3, v11, 0
	;; [unrolled: 1-line block ×3, first 2 shown]
	s_delay_alu instid0(VALU_DEP_2) | instskip(NEXT) | instid1(VALU_DEP_3)
	v_add_co_u32 v0, vcc_lo, v12, v5
	v_add_co_ci_u32_e32 v5, vcc_lo, 0, v6, vcc_lo
	s_delay_alu instid0(VALU_DEP_2) | instskip(NEXT) | instid1(VALU_DEP_2)
	v_add_co_u32 v0, vcc_lo, v0, v7
	v_add_co_ci_u32_e32 v0, vcc_lo, v5, v8, vcc_lo
	v_add_co_ci_u32_e32 v5, vcc_lo, 0, v10, vcc_lo
	s_delay_alu instid0(VALU_DEP_2) | instskip(NEXT) | instid1(VALU_DEP_2)
	v_add_co_u32 v0, vcc_lo, v0, v9
	v_add_co_ci_u32_e32 v7, vcc_lo, 0, v5, vcc_lo
	s_delay_alu instid0(VALU_DEP_2) | instskip(SKIP_1) | instid1(VALU_DEP_3)
	v_mul_lo_u32 v8, s9, v0
	v_mad_u64_u32 v[5:6], null, s8, v0, 0
	v_mul_lo_u32 v0, s8, v7
	s_delay_alu instid0(VALU_DEP_2) | instskip(NEXT) | instid1(VALU_DEP_2)
	v_sub_co_u32 v5, vcc_lo, v3, v5
	v_add3_u32 v0, v6, v0, v8
	s_delay_alu instid0(VALU_DEP_1) | instskip(NEXT) | instid1(VALU_DEP_1)
	v_sub_nc_u32_e32 v6, v4, v0
	v_subrev_co_ci_u32_e64 v6, s2, s9, v6, vcc_lo
	s_delay_alu instid0(VALU_DEP_4) | instskip(SKIP_1) | instid1(VALU_DEP_3)
	v_sub_co_u32 v7, s2, v5, s8
	v_sub_co_ci_u32_e32 v0, vcc_lo, v4, v0, vcc_lo
	v_subrev_co_ci_u32_e64 v6, s2, 0, v6, s2
	s_delay_alu instid0(VALU_DEP_3) | instskip(SKIP_1) | instid1(VALU_DEP_3)
	v_cmp_le_u32_e32 vcc_lo, s8, v7
	v_cndmask_b32_e64 v4, 0, -1, vcc_lo
	v_cmp_le_u32_e32 vcc_lo, s9, v6
	v_cndmask_b32_e64 v8, 0, -1, vcc_lo
	;; [unrolled: 2-line block ×4, first 2 shown]
	v_cmp_eq_u32_e32 vcc_lo, s9, v6
	v_cndmask_b32_e32 v4, v8, v4, vcc_lo
	v_sub_co_u32 v6, vcc_lo, v7, s8
	v_cmp_eq_u32_e32 vcc_lo, s9, v0
	v_cndmask_b32_e32 v0, v10, v9, vcc_lo
	s_delay_alu instid0(VALU_DEP_4) | instskip(NEXT) | instid1(VALU_DEP_4)
	v_cmp_ne_u32_e32 vcc_lo, 0, v4
	v_cndmask_b32_e32 v4, v7, v6, vcc_lo
	s_delay_alu instid0(VALU_DEP_3) | instskip(NEXT) | instid1(VALU_DEP_2)
	v_cmp_ne_u32_e32 vcc_lo, 0, v0
	v_cndmask_b32_e32 v5, v5, v4, vcc_lo
.LBB5_8:
	s_and_not1_saveexec_b32 s2, s3
	s_cbranch_execz .LBB5_10
; %bb.9:
	v_cvt_f32_u32_e32 v0, s8
	s_sub_i32 s3, 0, s8
	s_delay_alu instid0(VALU_DEP_1) | instskip(SKIP_2) | instid1(VALU_DEP_1)
	v_rcp_iflag_f32_e32 v0, v0
	s_waitcnt_depctr 0xfff
	v_mul_f32_e32 v0, 0x4f7ffffe, v0
	v_cvt_u32_f32_e32 v0, v0
	s_delay_alu instid0(VALU_DEP_1) | instskip(NEXT) | instid1(VALU_DEP_1)
	v_mul_lo_u32 v4, s3, v0
	v_mul_hi_u32 v4, v0, v4
	s_delay_alu instid0(VALU_DEP_1) | instskip(NEXT) | instid1(VALU_DEP_1)
	v_add_nc_u32_e32 v0, v0, v4
	v_mul_hi_u32 v0, v3, v0
	s_delay_alu instid0(VALU_DEP_1) | instskip(NEXT) | instid1(VALU_DEP_1)
	v_mul_lo_u32 v0, v0, s8
	v_sub_nc_u32_e32 v0, v3, v0
	s_delay_alu instid0(VALU_DEP_1) | instskip(SKIP_1) | instid1(VALU_DEP_2)
	v_subrev_nc_u32_e32 v4, s8, v0
	v_cmp_le_u32_e32 vcc_lo, s8, v0
	v_cndmask_b32_e32 v0, v0, v4, vcc_lo
	s_delay_alu instid0(VALU_DEP_1) | instskip(SKIP_1) | instid1(VALU_DEP_2)
	v_subrev_nc_u32_e32 v4, s8, v0
	v_cmp_le_u32_e32 vcc_lo, s8, v0
	v_cndmask_b32_e32 v5, v0, v4, vcc_lo
.LBB5_10:
	s_or_b32 exec_lo, exec_lo, s2
	v_mul_lo_u32 v0, v3, s16
	s_load_b32 s0, s[0:1], 0x30
	v_lshlrev_b64 v[6:7], 3, v[1:2]
	s_bfe_i64 s[2:3], s[12:13], 0x200000
	s_mul_i32 s1, s10, s8
	s_lshl_b64 s[2:3], s[2:3], 3
	s_mov_b64 s[8:9], 0
	s_delay_alu instid0(VALU_DEP_1) | instskip(SKIP_1) | instid1(VALU_DEP_1)
	v_add_co_u32 v2, vcc_lo, s18, v6
	v_sub_nc_u32_e32 v0, v1, v0
	v_cvt_f32_i32_e32 v0, v0
	s_delay_alu instid0(VALU_DEP_1) | instskip(SKIP_1) | instid1(VALU_DEP_1)
	v_add_f32_e32 v0, 0.5, v0
	s_waitcnt lgkmcnt(0)
	v_mul_f32_e32 v0, s0, v0
	s_add_i32 s0, s10, -1
	s_delay_alu instid0(VALU_DEP_1) | instskip(NEXT) | instid1(VALU_DEP_1)
	v_floor_f32_e32 v0, v0
	v_cvt_i32_f32_e32 v0, v0
	s_delay_alu instid0(VALU_DEP_1) | instskip(NEXT) | instid1(VALU_DEP_1)
	v_min_i32_e32 v3, s0, v0
	v_mad_u64_u32 v[0:1], null, v5, s10, v[3:4]
	v_add_co_ci_u32_e32 v3, vcc_lo, s19, v7, vcc_lo
	.p2align	6
.LBB5_11:                               ; =>This Inner Loop Header: Depth=1
	s_delay_alu instid0(VALU_DEP_2) | instskip(SKIP_2) | instid1(SALU_CYCLE_1)
	v_ashrrev_i32_e32 v1, 31, v0
	s_add_u32 s8, s8, 1
	s_addc_u32 s9, s9, 0
	v_cmp_lt_u64_e64 s0, s[8:9], s[6:7]
	s_delay_alu instid0(VALU_DEP_2) | instskip(SKIP_1) | instid1(VALU_DEP_2)
	v_lshlrev_b64 v[4:5], 3, v[0:1]
	v_add_nc_u32_e32 v0, s1, v0
	v_add_co_u32 v4, vcc_lo, s4, v4
	s_delay_alu instid0(VALU_DEP_3)
	v_add_co_ci_u32_e32 v5, vcc_lo, s5, v5, vcc_lo
	s_and_b32 vcc_lo, exec_lo, s0
	global_load_b64 v[4:5], v[4:5], off
	s_waitcnt vmcnt(0)
	global_store_b64 v[2:3], v[4:5], off
	v_add_co_u32 v2, s0, v2, s2
	s_delay_alu instid0(VALU_DEP_1)
	v_add_co_ci_u32_e64 v3, s0, s3, v3, s0
	s_cbranch_vccnz .LBB5_11
.LBB5_12:
	s_nop 0
	s_sendmsg sendmsg(MSG_DEALLOC_VGPRS)
	s_endpgm
	.section	.rodata,"a",@progbits
	.p2align	6, 0x0
	.amdhsa_kernel _ZN2at6native12_GLOBAL__N_128upsample_nearest1d_out_frameIdXadL_ZNS0_43nearest_neighbor_exact_compute_source_indexEfiiEEEEvPKT_mmmmPS3_f
		.amdhsa_group_segment_fixed_size 0
		.amdhsa_private_segment_fixed_size 0
		.amdhsa_kernarg_size 312
		.amdhsa_user_sgpr_count 15
		.amdhsa_user_sgpr_dispatch_ptr 0
		.amdhsa_user_sgpr_queue_ptr 0
		.amdhsa_user_sgpr_kernarg_segment_ptr 1
		.amdhsa_user_sgpr_dispatch_id 0
		.amdhsa_user_sgpr_private_segment_size 0
		.amdhsa_wavefront_size32 1
		.amdhsa_uses_dynamic_stack 0
		.amdhsa_enable_private_segment 0
		.amdhsa_system_sgpr_workgroup_id_x 1
		.amdhsa_system_sgpr_workgroup_id_y 0
		.amdhsa_system_sgpr_workgroup_id_z 0
		.amdhsa_system_sgpr_workgroup_info 0
		.amdhsa_system_vgpr_workitem_id 0
		.amdhsa_next_free_vgpr 13
		.amdhsa_next_free_sgpr 20
		.amdhsa_reserve_vcc 1
		.amdhsa_float_round_mode_32 0
		.amdhsa_float_round_mode_16_64 0
		.amdhsa_float_denorm_mode_32 3
		.amdhsa_float_denorm_mode_16_64 3
		.amdhsa_dx10_clamp 1
		.amdhsa_ieee_mode 1
		.amdhsa_fp16_overflow 0
		.amdhsa_workgroup_processor_mode 1
		.amdhsa_memory_ordered 1
		.amdhsa_forward_progress 0
		.amdhsa_shared_vgpr_count 0
		.amdhsa_exception_fp_ieee_invalid_op 0
		.amdhsa_exception_fp_denorm_src 0
		.amdhsa_exception_fp_ieee_div_zero 0
		.amdhsa_exception_fp_ieee_overflow 0
		.amdhsa_exception_fp_ieee_underflow 0
		.amdhsa_exception_fp_ieee_inexact 0
		.amdhsa_exception_int_div_zero 0
	.end_amdhsa_kernel
	.section	.text._ZN2at6native12_GLOBAL__N_128upsample_nearest1d_out_frameIdXadL_ZNS0_43nearest_neighbor_exact_compute_source_indexEfiiEEEEvPKT_mmmmPS3_f,"axG",@progbits,_ZN2at6native12_GLOBAL__N_128upsample_nearest1d_out_frameIdXadL_ZNS0_43nearest_neighbor_exact_compute_source_indexEfiiEEEEvPKT_mmmmPS3_f,comdat
.Lfunc_end5:
	.size	_ZN2at6native12_GLOBAL__N_128upsample_nearest1d_out_frameIdXadL_ZNS0_43nearest_neighbor_exact_compute_source_indexEfiiEEEEvPKT_mmmmPS3_f, .Lfunc_end5-_ZN2at6native12_GLOBAL__N_128upsample_nearest1d_out_frameIdXadL_ZNS0_43nearest_neighbor_exact_compute_source_indexEfiiEEEEvPKT_mmmmPS3_f
                                        ; -- End function
	.section	.AMDGPU.csdata,"",@progbits
; Kernel info:
; codeLenInByte = 2116
; NumSgprs: 22
; NumVgprs: 13
; ScratchSize: 0
; MemoryBound: 0
; FloatMode: 240
; IeeeMode: 1
; LDSByteSize: 0 bytes/workgroup (compile time only)
; SGPRBlocks: 2
; VGPRBlocks: 1
; NumSGPRsForWavesPerEU: 22
; NumVGPRsForWavesPerEU: 13
; Occupancy: 16
; WaveLimiterHint : 0
; COMPUTE_PGM_RSRC2:SCRATCH_EN: 0
; COMPUTE_PGM_RSRC2:USER_SGPR: 15
; COMPUTE_PGM_RSRC2:TRAP_HANDLER: 0
; COMPUTE_PGM_RSRC2:TGID_X_EN: 1
; COMPUTE_PGM_RSRC2:TGID_Y_EN: 0
; COMPUTE_PGM_RSRC2:TGID_Z_EN: 0
; COMPUTE_PGM_RSRC2:TIDIG_COMP_CNT: 0
	.section	.text._ZN2at6native12_GLOBAL__N_128upsample_nearest1d_out_frameIfXadL_ZNS0_43nearest_neighbor_exact_compute_source_indexEfiiEEEEvPKT_mmmmPS3_f,"axG",@progbits,_ZN2at6native12_GLOBAL__N_128upsample_nearest1d_out_frameIfXadL_ZNS0_43nearest_neighbor_exact_compute_source_indexEfiiEEEEvPKT_mmmmPS3_f,comdat
	.globl	_ZN2at6native12_GLOBAL__N_128upsample_nearest1d_out_frameIfXadL_ZNS0_43nearest_neighbor_exact_compute_source_indexEfiiEEEEvPKT_mmmmPS3_f ; -- Begin function _ZN2at6native12_GLOBAL__N_128upsample_nearest1d_out_frameIfXadL_ZNS0_43nearest_neighbor_exact_compute_source_indexEfiiEEEEvPKT_mmmmPS3_f
	.p2align	8
	.type	_ZN2at6native12_GLOBAL__N_128upsample_nearest1d_out_frameIfXadL_ZNS0_43nearest_neighbor_exact_compute_source_indexEfiiEEEEvPKT_mmmmPS3_f,@function
_ZN2at6native12_GLOBAL__N_128upsample_nearest1d_out_frameIfXadL_ZNS0_43nearest_neighbor_exact_compute_source_indexEfiiEEEEvPKT_mmmmPS3_f: ; @_ZN2at6native12_GLOBAL__N_128upsample_nearest1d_out_frameIfXadL_ZNS0_43nearest_neighbor_exact_compute_source_indexEfiiEEEEvPKT_mmmmPS3_f
; %bb.0:
	s_clause 0x2
	s_load_b32 s2, s[0:1], 0x44
	s_load_b128 s[16:19], s[0:1], 0x20
	s_load_b256 s[4:11], s[0:1], 0x0
	s_waitcnt lgkmcnt(0)
	s_and_b32 s2, s2, 0xffff
	s_delay_alu instid0(SALU_CYCLE_1)
	v_mad_u64_u32 v[1:2], null, s15, s2, v[0:1]
	s_mul_i32 s2, s16, s9
	s_mul_hi_u32 s3, s16, s8
	s_mul_i32 s12, s16, s8
	s_add_i32 s2, s3, s2
	s_mul_i32 s3, s17, s8
	s_delay_alu instid0(SALU_CYCLE_1) | instskip(NEXT) | instid1(VALU_DEP_1)
	s_add_i32 s13, s2, s3
	v_ashrrev_i32_e32 v2, 31, v1
	s_mov_b32 s2, exec_lo
	s_delay_alu instid0(VALU_DEP_1)
	v_cmpx_gt_u64_e64 s[12:13], v[1:2]
	s_cbranch_execz .LBB6_12
; %bb.1:
	s_cmp_eq_u64 s[6:7], 0
	s_cbranch_scc1 .LBB6_12
; %bb.2:
	v_or_b32_e32 v4, s17, v2
	v_mov_b32_e32 v3, 0
	s_delay_alu instid0(VALU_DEP_1) | instskip(SKIP_1) | instid1(SALU_CYCLE_1)
	v_cmp_ne_u64_e32 vcc_lo, 0, v[3:4]
                                        ; implicit-def: $vgpr3_vgpr4
	s_and_saveexec_b32 s2, vcc_lo
	s_xor_b32 s3, exec_lo, s2
	s_cbranch_execz .LBB6_4
; %bb.3:
	v_cvt_f32_u32_e32 v0, s16
	v_cvt_f32_u32_e32 v3, s17
	s_sub_u32 s2, 0, s16
	s_subb_u32 s11, 0, s17
	s_delay_alu instid0(VALU_DEP_1) | instskip(NEXT) | instid1(VALU_DEP_1)
	v_fmamk_f32 v0, v3, 0x4f800000, v0
	v_rcp_f32_e32 v0, v0
	s_waitcnt_depctr 0xfff
	v_mul_f32_e32 v0, 0x5f7ffffc, v0
	s_delay_alu instid0(VALU_DEP_1) | instskip(NEXT) | instid1(VALU_DEP_1)
	v_mul_f32_e32 v3, 0x2f800000, v0
	v_trunc_f32_e32 v3, v3
	s_delay_alu instid0(VALU_DEP_1) | instskip(SKIP_1) | instid1(VALU_DEP_2)
	v_fmamk_f32 v0, v3, 0xcf800000, v0
	v_cvt_u32_f32_e32 v3, v3
	v_cvt_u32_f32_e32 v0, v0
	s_delay_alu instid0(VALU_DEP_2) | instskip(NEXT) | instid1(VALU_DEP_2)
	v_mul_lo_u32 v4, s2, v3
	v_mul_hi_u32 v5, s2, v0
	v_mul_lo_u32 v6, s11, v0
	s_delay_alu instid0(VALU_DEP_2) | instskip(SKIP_1) | instid1(VALU_DEP_2)
	v_add_nc_u32_e32 v4, v5, v4
	v_mul_lo_u32 v5, s2, v0
	v_add_nc_u32_e32 v4, v4, v6
	s_delay_alu instid0(VALU_DEP_2) | instskip(NEXT) | instid1(VALU_DEP_2)
	v_mul_hi_u32 v6, v0, v5
	v_mul_lo_u32 v7, v0, v4
	v_mul_hi_u32 v8, v0, v4
	v_mul_hi_u32 v9, v3, v5
	v_mul_lo_u32 v5, v3, v5
	v_mul_hi_u32 v10, v3, v4
	v_mul_lo_u32 v4, v3, v4
	v_add_co_u32 v6, vcc_lo, v6, v7
	v_add_co_ci_u32_e32 v7, vcc_lo, 0, v8, vcc_lo
	s_delay_alu instid0(VALU_DEP_2) | instskip(NEXT) | instid1(VALU_DEP_2)
	v_add_co_u32 v5, vcc_lo, v6, v5
	v_add_co_ci_u32_e32 v5, vcc_lo, v7, v9, vcc_lo
	v_add_co_ci_u32_e32 v6, vcc_lo, 0, v10, vcc_lo
	s_delay_alu instid0(VALU_DEP_2) | instskip(NEXT) | instid1(VALU_DEP_2)
	v_add_co_u32 v4, vcc_lo, v5, v4
	v_add_co_ci_u32_e32 v5, vcc_lo, 0, v6, vcc_lo
	s_delay_alu instid0(VALU_DEP_2) | instskip(NEXT) | instid1(VALU_DEP_2)
	v_add_co_u32 v0, vcc_lo, v0, v4
	v_add_co_ci_u32_e32 v3, vcc_lo, v3, v5, vcc_lo
	s_delay_alu instid0(VALU_DEP_2) | instskip(SKIP_1) | instid1(VALU_DEP_3)
	v_mul_hi_u32 v4, s2, v0
	v_mul_lo_u32 v6, s11, v0
	v_mul_lo_u32 v5, s2, v3
	s_delay_alu instid0(VALU_DEP_1) | instskip(SKIP_1) | instid1(VALU_DEP_2)
	v_add_nc_u32_e32 v4, v4, v5
	v_mul_lo_u32 v5, s2, v0
	v_add_nc_u32_e32 v4, v4, v6
	s_delay_alu instid0(VALU_DEP_2) | instskip(NEXT) | instid1(VALU_DEP_2)
	v_mul_hi_u32 v6, v0, v5
	v_mul_lo_u32 v7, v0, v4
	v_mul_hi_u32 v8, v0, v4
	v_mul_hi_u32 v9, v3, v5
	v_mul_lo_u32 v5, v3, v5
	v_mul_hi_u32 v10, v3, v4
	v_mul_lo_u32 v4, v3, v4
	v_add_co_u32 v6, vcc_lo, v6, v7
	v_add_co_ci_u32_e32 v7, vcc_lo, 0, v8, vcc_lo
	s_delay_alu instid0(VALU_DEP_2) | instskip(NEXT) | instid1(VALU_DEP_2)
	v_add_co_u32 v5, vcc_lo, v6, v5
	v_add_co_ci_u32_e32 v5, vcc_lo, v7, v9, vcc_lo
	v_add_co_ci_u32_e32 v6, vcc_lo, 0, v10, vcc_lo
	s_delay_alu instid0(VALU_DEP_2) | instskip(NEXT) | instid1(VALU_DEP_2)
	v_add_co_u32 v4, vcc_lo, v5, v4
	v_add_co_ci_u32_e32 v5, vcc_lo, 0, v6, vcc_lo
	s_delay_alu instid0(VALU_DEP_2) | instskip(NEXT) | instid1(VALU_DEP_2)
	v_add_co_u32 v0, vcc_lo, v0, v4
	v_add_co_ci_u32_e32 v9, vcc_lo, v3, v5, vcc_lo
	s_delay_alu instid0(VALU_DEP_2) | instskip(SKIP_1) | instid1(VALU_DEP_3)
	v_mul_hi_u32 v10, v1, v0
	v_mad_u64_u32 v[5:6], null, v2, v0, 0
	v_mad_u64_u32 v[3:4], null, v1, v9, 0
	;; [unrolled: 1-line block ×3, first 2 shown]
	s_delay_alu instid0(VALU_DEP_2) | instskip(NEXT) | instid1(VALU_DEP_3)
	v_add_co_u32 v0, vcc_lo, v10, v3
	v_add_co_ci_u32_e32 v3, vcc_lo, 0, v4, vcc_lo
	s_delay_alu instid0(VALU_DEP_2) | instskip(NEXT) | instid1(VALU_DEP_2)
	v_add_co_u32 v0, vcc_lo, v0, v5
	v_add_co_ci_u32_e32 v0, vcc_lo, v3, v6, vcc_lo
	v_add_co_ci_u32_e32 v3, vcc_lo, 0, v8, vcc_lo
	s_delay_alu instid0(VALU_DEP_2) | instskip(NEXT) | instid1(VALU_DEP_2)
	v_add_co_u32 v0, vcc_lo, v0, v7
	v_add_co_ci_u32_e32 v5, vcc_lo, 0, v3, vcc_lo
	s_delay_alu instid0(VALU_DEP_2) | instskip(SKIP_1) | instid1(VALU_DEP_3)
	v_mul_lo_u32 v6, s17, v0
	v_mad_u64_u32 v[3:4], null, s16, v0, 0
	v_mul_lo_u32 v7, s16, v5
	s_delay_alu instid0(VALU_DEP_2) | instskip(NEXT) | instid1(VALU_DEP_2)
	v_sub_co_u32 v3, vcc_lo, v1, v3
	v_add3_u32 v4, v4, v7, v6
	s_delay_alu instid0(VALU_DEP_1) | instskip(NEXT) | instid1(VALU_DEP_1)
	v_sub_nc_u32_e32 v6, v2, v4
	v_subrev_co_ci_u32_e64 v6, s2, s17, v6, vcc_lo
	v_add_co_u32 v7, s2, v0, 2
	s_delay_alu instid0(VALU_DEP_1) | instskip(SKIP_3) | instid1(VALU_DEP_3)
	v_add_co_ci_u32_e64 v8, s2, 0, v5, s2
	v_sub_co_u32 v9, s2, v3, s16
	v_sub_co_ci_u32_e32 v4, vcc_lo, v2, v4, vcc_lo
	v_subrev_co_ci_u32_e64 v6, s2, 0, v6, s2
	v_cmp_le_u32_e32 vcc_lo, s16, v9
	s_delay_alu instid0(VALU_DEP_3) | instskip(SKIP_1) | instid1(VALU_DEP_4)
	v_cmp_eq_u32_e64 s2, s17, v4
	v_cndmask_b32_e64 v9, 0, -1, vcc_lo
	v_cmp_le_u32_e32 vcc_lo, s17, v6
	v_cndmask_b32_e64 v10, 0, -1, vcc_lo
	v_cmp_le_u32_e32 vcc_lo, s16, v3
	;; [unrolled: 2-line block ×3, first 2 shown]
	v_cndmask_b32_e64 v11, 0, -1, vcc_lo
	v_cmp_eq_u32_e32 vcc_lo, s17, v6
	s_delay_alu instid0(VALU_DEP_2) | instskip(SKIP_3) | instid1(VALU_DEP_3)
	v_cndmask_b32_e64 v3, v11, v3, s2
	v_cndmask_b32_e32 v6, v10, v9, vcc_lo
	v_add_co_u32 v9, vcc_lo, v0, 1
	v_add_co_ci_u32_e32 v10, vcc_lo, 0, v5, vcc_lo
	v_cmp_ne_u32_e32 vcc_lo, 0, v6
	s_delay_alu instid0(VALU_DEP_2) | instskip(NEXT) | instid1(VALU_DEP_4)
	v_cndmask_b32_e32 v4, v10, v8, vcc_lo
	v_cndmask_b32_e32 v6, v9, v7, vcc_lo
	v_cmp_ne_u32_e32 vcc_lo, 0, v3
	s_delay_alu instid0(VALU_DEP_2)
	v_dual_cndmask_b32 v3, v0, v6 :: v_dual_cndmask_b32 v4, v5, v4
.LBB6_4:
	s_and_not1_saveexec_b32 s2, s3
	s_cbranch_execz .LBB6_6
; %bb.5:
	v_cvt_f32_u32_e32 v0, s16
	s_sub_i32 s3, 0, s16
	s_delay_alu instid0(VALU_DEP_1) | instskip(SKIP_2) | instid1(VALU_DEP_1)
	v_rcp_iflag_f32_e32 v0, v0
	s_waitcnt_depctr 0xfff
	v_mul_f32_e32 v0, 0x4f7ffffe, v0
	v_cvt_u32_f32_e32 v0, v0
	s_delay_alu instid0(VALU_DEP_1) | instskip(NEXT) | instid1(VALU_DEP_1)
	v_mul_lo_u32 v3, s3, v0
	v_mul_hi_u32 v3, v0, v3
	s_delay_alu instid0(VALU_DEP_1) | instskip(NEXT) | instid1(VALU_DEP_1)
	v_add_nc_u32_e32 v0, v0, v3
	v_mul_hi_u32 v0, v1, v0
	s_delay_alu instid0(VALU_DEP_1) | instskip(SKIP_1) | instid1(VALU_DEP_2)
	v_mul_lo_u32 v3, v0, s16
	v_add_nc_u32_e32 v4, 1, v0
	v_sub_nc_u32_e32 v3, v1, v3
	s_delay_alu instid0(VALU_DEP_1) | instskip(SKIP_1) | instid1(VALU_DEP_2)
	v_subrev_nc_u32_e32 v5, s16, v3
	v_cmp_le_u32_e32 vcc_lo, s16, v3
	v_dual_cndmask_b32 v3, v3, v5 :: v_dual_cndmask_b32 v0, v0, v4
	s_delay_alu instid0(VALU_DEP_1) | instskip(NEXT) | instid1(VALU_DEP_2)
	v_cmp_le_u32_e32 vcc_lo, s16, v3
	v_add_nc_u32_e32 v4, 1, v0
	s_delay_alu instid0(VALU_DEP_1)
	v_dual_cndmask_b32 v3, v0, v4 :: v_dual_mov_b32 v4, 0
.LBB6_6:
	s_or_b32 exec_lo, exec_lo, s2
	s_delay_alu instid0(VALU_DEP_1) | instskip(SKIP_1) | instid1(VALU_DEP_1)
	v_or_b32_e32 v6, s9, v4
	v_mov_b32_e32 v5, 0
	v_cmp_ne_u64_e32 vcc_lo, 0, v[5:6]
                                        ; implicit-def: $vgpr5_vgpr6
	s_and_saveexec_b32 s2, vcc_lo
	s_delay_alu instid0(SALU_CYCLE_1)
	s_xor_b32 s3, exec_lo, s2
	s_cbranch_execz .LBB6_8
; %bb.7:
	v_cvt_f32_u32_e32 v0, s8
	v_cvt_f32_u32_e32 v5, s9
	s_sub_u32 s2, 0, s8
	s_subb_u32 s11, 0, s9
	s_delay_alu instid0(VALU_DEP_1) | instskip(NEXT) | instid1(VALU_DEP_1)
	v_fmamk_f32 v0, v5, 0x4f800000, v0
	v_rcp_f32_e32 v0, v0
	s_waitcnt_depctr 0xfff
	v_mul_f32_e32 v0, 0x5f7ffffc, v0
	s_delay_alu instid0(VALU_DEP_1) | instskip(NEXT) | instid1(VALU_DEP_1)
	v_mul_f32_e32 v5, 0x2f800000, v0
	v_trunc_f32_e32 v5, v5
	s_delay_alu instid0(VALU_DEP_1) | instskip(SKIP_1) | instid1(VALU_DEP_2)
	v_fmamk_f32 v0, v5, 0xcf800000, v0
	v_cvt_u32_f32_e32 v5, v5
	v_cvt_u32_f32_e32 v0, v0
	s_delay_alu instid0(VALU_DEP_2) | instskip(NEXT) | instid1(VALU_DEP_2)
	v_mul_lo_u32 v6, s2, v5
	v_mul_hi_u32 v7, s2, v0
	v_mul_lo_u32 v8, s11, v0
	s_delay_alu instid0(VALU_DEP_2) | instskip(SKIP_1) | instid1(VALU_DEP_2)
	v_add_nc_u32_e32 v6, v7, v6
	v_mul_lo_u32 v7, s2, v0
	v_add_nc_u32_e32 v6, v6, v8
	s_delay_alu instid0(VALU_DEP_2) | instskip(NEXT) | instid1(VALU_DEP_2)
	v_mul_hi_u32 v8, v0, v7
	v_mul_lo_u32 v9, v0, v6
	v_mul_hi_u32 v10, v0, v6
	v_mul_hi_u32 v11, v5, v7
	v_mul_lo_u32 v7, v5, v7
	v_mul_hi_u32 v12, v5, v6
	v_mul_lo_u32 v6, v5, v6
	v_add_co_u32 v8, vcc_lo, v8, v9
	v_add_co_ci_u32_e32 v9, vcc_lo, 0, v10, vcc_lo
	s_delay_alu instid0(VALU_DEP_2) | instskip(NEXT) | instid1(VALU_DEP_2)
	v_add_co_u32 v7, vcc_lo, v8, v7
	v_add_co_ci_u32_e32 v7, vcc_lo, v9, v11, vcc_lo
	v_add_co_ci_u32_e32 v8, vcc_lo, 0, v12, vcc_lo
	s_delay_alu instid0(VALU_DEP_2) | instskip(NEXT) | instid1(VALU_DEP_2)
	v_add_co_u32 v6, vcc_lo, v7, v6
	v_add_co_ci_u32_e32 v7, vcc_lo, 0, v8, vcc_lo
	s_delay_alu instid0(VALU_DEP_2) | instskip(NEXT) | instid1(VALU_DEP_2)
	v_add_co_u32 v0, vcc_lo, v0, v6
	v_add_co_ci_u32_e32 v5, vcc_lo, v5, v7, vcc_lo
	s_delay_alu instid0(VALU_DEP_2) | instskip(SKIP_1) | instid1(VALU_DEP_3)
	v_mul_hi_u32 v6, s2, v0
	v_mul_lo_u32 v8, s11, v0
	v_mul_lo_u32 v7, s2, v5
	s_delay_alu instid0(VALU_DEP_1) | instskip(SKIP_1) | instid1(VALU_DEP_2)
	v_add_nc_u32_e32 v6, v6, v7
	v_mul_lo_u32 v7, s2, v0
	v_add_nc_u32_e32 v6, v6, v8
	s_delay_alu instid0(VALU_DEP_2) | instskip(NEXT) | instid1(VALU_DEP_2)
	v_mul_hi_u32 v8, v0, v7
	v_mul_lo_u32 v9, v0, v6
	v_mul_hi_u32 v10, v0, v6
	v_mul_hi_u32 v11, v5, v7
	v_mul_lo_u32 v7, v5, v7
	v_mul_hi_u32 v12, v5, v6
	v_mul_lo_u32 v6, v5, v6
	v_add_co_u32 v8, vcc_lo, v8, v9
	v_add_co_ci_u32_e32 v9, vcc_lo, 0, v10, vcc_lo
	s_delay_alu instid0(VALU_DEP_2) | instskip(NEXT) | instid1(VALU_DEP_2)
	v_add_co_u32 v7, vcc_lo, v8, v7
	v_add_co_ci_u32_e32 v7, vcc_lo, v9, v11, vcc_lo
	v_add_co_ci_u32_e32 v8, vcc_lo, 0, v12, vcc_lo
	s_delay_alu instid0(VALU_DEP_2) | instskip(NEXT) | instid1(VALU_DEP_2)
	v_add_co_u32 v6, vcc_lo, v7, v6
	v_add_co_ci_u32_e32 v7, vcc_lo, 0, v8, vcc_lo
	s_delay_alu instid0(VALU_DEP_2) | instskip(NEXT) | instid1(VALU_DEP_2)
	v_add_co_u32 v0, vcc_lo, v0, v6
	v_add_co_ci_u32_e32 v11, vcc_lo, v5, v7, vcc_lo
	s_delay_alu instid0(VALU_DEP_2) | instskip(SKIP_1) | instid1(VALU_DEP_3)
	v_mul_hi_u32 v12, v3, v0
	v_mad_u64_u32 v[7:8], null, v4, v0, 0
	v_mad_u64_u32 v[5:6], null, v3, v11, 0
	;; [unrolled: 1-line block ×3, first 2 shown]
	s_delay_alu instid0(VALU_DEP_2) | instskip(NEXT) | instid1(VALU_DEP_3)
	v_add_co_u32 v0, vcc_lo, v12, v5
	v_add_co_ci_u32_e32 v5, vcc_lo, 0, v6, vcc_lo
	s_delay_alu instid0(VALU_DEP_2) | instskip(NEXT) | instid1(VALU_DEP_2)
	v_add_co_u32 v0, vcc_lo, v0, v7
	v_add_co_ci_u32_e32 v0, vcc_lo, v5, v8, vcc_lo
	v_add_co_ci_u32_e32 v5, vcc_lo, 0, v10, vcc_lo
	s_delay_alu instid0(VALU_DEP_2) | instskip(NEXT) | instid1(VALU_DEP_2)
	v_add_co_u32 v0, vcc_lo, v0, v9
	v_add_co_ci_u32_e32 v7, vcc_lo, 0, v5, vcc_lo
	s_delay_alu instid0(VALU_DEP_2) | instskip(SKIP_1) | instid1(VALU_DEP_3)
	v_mul_lo_u32 v8, s9, v0
	v_mad_u64_u32 v[5:6], null, s8, v0, 0
	v_mul_lo_u32 v0, s8, v7
	s_delay_alu instid0(VALU_DEP_2) | instskip(NEXT) | instid1(VALU_DEP_2)
	v_sub_co_u32 v5, vcc_lo, v3, v5
	v_add3_u32 v0, v6, v0, v8
	s_delay_alu instid0(VALU_DEP_1) | instskip(NEXT) | instid1(VALU_DEP_1)
	v_sub_nc_u32_e32 v6, v4, v0
	v_subrev_co_ci_u32_e64 v6, s2, s9, v6, vcc_lo
	s_delay_alu instid0(VALU_DEP_4) | instskip(SKIP_1) | instid1(VALU_DEP_3)
	v_sub_co_u32 v7, s2, v5, s8
	v_sub_co_ci_u32_e32 v0, vcc_lo, v4, v0, vcc_lo
	v_subrev_co_ci_u32_e64 v6, s2, 0, v6, s2
	s_delay_alu instid0(VALU_DEP_3) | instskip(SKIP_1) | instid1(VALU_DEP_3)
	v_cmp_le_u32_e32 vcc_lo, s8, v7
	v_cndmask_b32_e64 v4, 0, -1, vcc_lo
	v_cmp_le_u32_e32 vcc_lo, s9, v6
	v_cndmask_b32_e64 v8, 0, -1, vcc_lo
	;; [unrolled: 2-line block ×4, first 2 shown]
	v_cmp_eq_u32_e32 vcc_lo, s9, v6
	v_cndmask_b32_e32 v4, v8, v4, vcc_lo
	v_sub_co_u32 v6, vcc_lo, v7, s8
	v_cmp_eq_u32_e32 vcc_lo, s9, v0
	v_cndmask_b32_e32 v0, v10, v9, vcc_lo
	s_delay_alu instid0(VALU_DEP_4) | instskip(NEXT) | instid1(VALU_DEP_4)
	v_cmp_ne_u32_e32 vcc_lo, 0, v4
	v_cndmask_b32_e32 v4, v7, v6, vcc_lo
	s_delay_alu instid0(VALU_DEP_3) | instskip(NEXT) | instid1(VALU_DEP_2)
	v_cmp_ne_u32_e32 vcc_lo, 0, v0
	v_cndmask_b32_e32 v5, v5, v4, vcc_lo
.LBB6_8:
	s_and_not1_saveexec_b32 s2, s3
	s_cbranch_execz .LBB6_10
; %bb.9:
	v_cvt_f32_u32_e32 v0, s8
	s_sub_i32 s3, 0, s8
	s_delay_alu instid0(VALU_DEP_1) | instskip(SKIP_2) | instid1(VALU_DEP_1)
	v_rcp_iflag_f32_e32 v0, v0
	s_waitcnt_depctr 0xfff
	v_mul_f32_e32 v0, 0x4f7ffffe, v0
	v_cvt_u32_f32_e32 v0, v0
	s_delay_alu instid0(VALU_DEP_1) | instskip(NEXT) | instid1(VALU_DEP_1)
	v_mul_lo_u32 v4, s3, v0
	v_mul_hi_u32 v4, v0, v4
	s_delay_alu instid0(VALU_DEP_1) | instskip(NEXT) | instid1(VALU_DEP_1)
	v_add_nc_u32_e32 v0, v0, v4
	v_mul_hi_u32 v0, v3, v0
	s_delay_alu instid0(VALU_DEP_1) | instskip(NEXT) | instid1(VALU_DEP_1)
	v_mul_lo_u32 v0, v0, s8
	v_sub_nc_u32_e32 v0, v3, v0
	s_delay_alu instid0(VALU_DEP_1) | instskip(SKIP_1) | instid1(VALU_DEP_2)
	v_subrev_nc_u32_e32 v4, s8, v0
	v_cmp_le_u32_e32 vcc_lo, s8, v0
	v_cndmask_b32_e32 v0, v0, v4, vcc_lo
	s_delay_alu instid0(VALU_DEP_1) | instskip(SKIP_1) | instid1(VALU_DEP_2)
	v_subrev_nc_u32_e32 v4, s8, v0
	v_cmp_le_u32_e32 vcc_lo, s8, v0
	v_cndmask_b32_e32 v5, v0, v4, vcc_lo
.LBB6_10:
	s_or_b32 exec_lo, exec_lo, s2
	v_mul_lo_u32 v0, v3, s16
	s_load_b32 s0, s[0:1], 0x30
	v_lshlrev_b64 v[6:7], 2, v[1:2]
	s_bfe_i64 s[2:3], s[12:13], 0x200000
	s_mul_i32 s1, s10, s8
	s_lshl_b64 s[2:3], s[2:3], 2
	s_mov_b64 s[8:9], 0
	s_delay_alu instid0(VALU_DEP_1) | instskip(SKIP_1) | instid1(VALU_DEP_1)
	v_add_co_u32 v2, vcc_lo, s18, v6
	v_sub_nc_u32_e32 v0, v1, v0
	v_cvt_f32_i32_e32 v0, v0
	s_delay_alu instid0(VALU_DEP_1) | instskip(SKIP_1) | instid1(VALU_DEP_1)
	v_add_f32_e32 v0, 0.5, v0
	s_waitcnt lgkmcnt(0)
	v_mul_f32_e32 v0, s0, v0
	s_add_i32 s0, s10, -1
	s_delay_alu instid0(VALU_DEP_1) | instskip(NEXT) | instid1(VALU_DEP_1)
	v_floor_f32_e32 v0, v0
	v_cvt_i32_f32_e32 v0, v0
	s_delay_alu instid0(VALU_DEP_1) | instskip(NEXT) | instid1(VALU_DEP_1)
	v_min_i32_e32 v3, s0, v0
	v_mad_u64_u32 v[0:1], null, v5, s10, v[3:4]
	v_add_co_ci_u32_e32 v3, vcc_lo, s19, v7, vcc_lo
	.p2align	6
.LBB6_11:                               ; =>This Inner Loop Header: Depth=1
	s_delay_alu instid0(VALU_DEP_2) | instskip(SKIP_2) | instid1(SALU_CYCLE_1)
	v_ashrrev_i32_e32 v1, 31, v0
	s_add_u32 s8, s8, 1
	s_addc_u32 s9, s9, 0
	v_cmp_lt_u64_e64 s0, s[8:9], s[6:7]
	s_delay_alu instid0(VALU_DEP_2) | instskip(SKIP_1) | instid1(VALU_DEP_2)
	v_lshlrev_b64 v[4:5], 2, v[0:1]
	v_add_nc_u32_e32 v0, s1, v0
	v_add_co_u32 v4, vcc_lo, s4, v4
	s_delay_alu instid0(VALU_DEP_3)
	v_add_co_ci_u32_e32 v5, vcc_lo, s5, v5, vcc_lo
	s_and_b32 vcc_lo, exec_lo, s0
	global_load_b32 v1, v[4:5], off
	s_waitcnt vmcnt(0)
	global_store_b32 v[2:3], v1, off
	v_add_co_u32 v2, s0, v2, s2
	s_delay_alu instid0(VALU_DEP_1)
	v_add_co_ci_u32_e64 v3, s0, s3, v3, s0
	s_cbranch_vccnz .LBB6_11
.LBB6_12:
	s_nop 0
	s_sendmsg sendmsg(MSG_DEALLOC_VGPRS)
	s_endpgm
	.section	.rodata,"a",@progbits
	.p2align	6, 0x0
	.amdhsa_kernel _ZN2at6native12_GLOBAL__N_128upsample_nearest1d_out_frameIfXadL_ZNS0_43nearest_neighbor_exact_compute_source_indexEfiiEEEEvPKT_mmmmPS3_f
		.amdhsa_group_segment_fixed_size 0
		.amdhsa_private_segment_fixed_size 0
		.amdhsa_kernarg_size 312
		.amdhsa_user_sgpr_count 15
		.amdhsa_user_sgpr_dispatch_ptr 0
		.amdhsa_user_sgpr_queue_ptr 0
		.amdhsa_user_sgpr_kernarg_segment_ptr 1
		.amdhsa_user_sgpr_dispatch_id 0
		.amdhsa_user_sgpr_private_segment_size 0
		.amdhsa_wavefront_size32 1
		.amdhsa_uses_dynamic_stack 0
		.amdhsa_enable_private_segment 0
		.amdhsa_system_sgpr_workgroup_id_x 1
		.amdhsa_system_sgpr_workgroup_id_y 0
		.amdhsa_system_sgpr_workgroup_id_z 0
		.amdhsa_system_sgpr_workgroup_info 0
		.amdhsa_system_vgpr_workitem_id 0
		.amdhsa_next_free_vgpr 13
		.amdhsa_next_free_sgpr 20
		.amdhsa_reserve_vcc 1
		.amdhsa_float_round_mode_32 0
		.amdhsa_float_round_mode_16_64 0
		.amdhsa_float_denorm_mode_32 3
		.amdhsa_float_denorm_mode_16_64 3
		.amdhsa_dx10_clamp 1
		.amdhsa_ieee_mode 1
		.amdhsa_fp16_overflow 0
		.amdhsa_workgroup_processor_mode 1
		.amdhsa_memory_ordered 1
		.amdhsa_forward_progress 0
		.amdhsa_shared_vgpr_count 0
		.amdhsa_exception_fp_ieee_invalid_op 0
		.amdhsa_exception_fp_denorm_src 0
		.amdhsa_exception_fp_ieee_div_zero 0
		.amdhsa_exception_fp_ieee_overflow 0
		.amdhsa_exception_fp_ieee_underflow 0
		.amdhsa_exception_fp_ieee_inexact 0
		.amdhsa_exception_int_div_zero 0
	.end_amdhsa_kernel
	.section	.text._ZN2at6native12_GLOBAL__N_128upsample_nearest1d_out_frameIfXadL_ZNS0_43nearest_neighbor_exact_compute_source_indexEfiiEEEEvPKT_mmmmPS3_f,"axG",@progbits,_ZN2at6native12_GLOBAL__N_128upsample_nearest1d_out_frameIfXadL_ZNS0_43nearest_neighbor_exact_compute_source_indexEfiiEEEEvPKT_mmmmPS3_f,comdat
.Lfunc_end6:
	.size	_ZN2at6native12_GLOBAL__N_128upsample_nearest1d_out_frameIfXadL_ZNS0_43nearest_neighbor_exact_compute_source_indexEfiiEEEEvPKT_mmmmPS3_f, .Lfunc_end6-_ZN2at6native12_GLOBAL__N_128upsample_nearest1d_out_frameIfXadL_ZNS0_43nearest_neighbor_exact_compute_source_indexEfiiEEEEvPKT_mmmmPS3_f
                                        ; -- End function
	.section	.AMDGPU.csdata,"",@progbits
; Kernel info:
; codeLenInByte = 2116
; NumSgprs: 22
; NumVgprs: 13
; ScratchSize: 0
; MemoryBound: 0
; FloatMode: 240
; IeeeMode: 1
; LDSByteSize: 0 bytes/workgroup (compile time only)
; SGPRBlocks: 2
; VGPRBlocks: 1
; NumSGPRsForWavesPerEU: 22
; NumVGPRsForWavesPerEU: 13
; Occupancy: 16
; WaveLimiterHint : 0
; COMPUTE_PGM_RSRC2:SCRATCH_EN: 0
; COMPUTE_PGM_RSRC2:USER_SGPR: 15
; COMPUTE_PGM_RSRC2:TRAP_HANDLER: 0
; COMPUTE_PGM_RSRC2:TGID_X_EN: 1
; COMPUTE_PGM_RSRC2:TGID_Y_EN: 0
; COMPUTE_PGM_RSRC2:TGID_Z_EN: 0
; COMPUTE_PGM_RSRC2:TIDIG_COMP_CNT: 0
	.section	.text._ZN2at6native12_GLOBAL__N_128upsample_nearest1d_out_frameIN3c104HalfEXadL_ZNS0_43nearest_neighbor_exact_compute_source_indexEfiiEEEEvPKT_mmmmPS5_f,"axG",@progbits,_ZN2at6native12_GLOBAL__N_128upsample_nearest1d_out_frameIN3c104HalfEXadL_ZNS0_43nearest_neighbor_exact_compute_source_indexEfiiEEEEvPKT_mmmmPS5_f,comdat
	.globl	_ZN2at6native12_GLOBAL__N_128upsample_nearest1d_out_frameIN3c104HalfEXadL_ZNS0_43nearest_neighbor_exact_compute_source_indexEfiiEEEEvPKT_mmmmPS5_f ; -- Begin function _ZN2at6native12_GLOBAL__N_128upsample_nearest1d_out_frameIN3c104HalfEXadL_ZNS0_43nearest_neighbor_exact_compute_source_indexEfiiEEEEvPKT_mmmmPS5_f
	.p2align	8
	.type	_ZN2at6native12_GLOBAL__N_128upsample_nearest1d_out_frameIN3c104HalfEXadL_ZNS0_43nearest_neighbor_exact_compute_source_indexEfiiEEEEvPKT_mmmmPS5_f,@function
_ZN2at6native12_GLOBAL__N_128upsample_nearest1d_out_frameIN3c104HalfEXadL_ZNS0_43nearest_neighbor_exact_compute_source_indexEfiiEEEEvPKT_mmmmPS5_f: ; @_ZN2at6native12_GLOBAL__N_128upsample_nearest1d_out_frameIN3c104HalfEXadL_ZNS0_43nearest_neighbor_exact_compute_source_indexEfiiEEEEvPKT_mmmmPS5_f
; %bb.0:
	s_clause 0x2
	s_load_b32 s2, s[0:1], 0x44
	s_load_b128 s[16:19], s[0:1], 0x20
	s_load_b256 s[4:11], s[0:1], 0x0
	s_waitcnt lgkmcnt(0)
	s_and_b32 s2, s2, 0xffff
	s_delay_alu instid0(SALU_CYCLE_1)
	v_mad_u64_u32 v[1:2], null, s15, s2, v[0:1]
	s_mul_i32 s2, s16, s9
	s_mul_hi_u32 s3, s16, s8
	s_mul_i32 s12, s16, s8
	s_add_i32 s2, s3, s2
	s_mul_i32 s3, s17, s8
	s_delay_alu instid0(SALU_CYCLE_1) | instskip(NEXT) | instid1(VALU_DEP_1)
	s_add_i32 s13, s2, s3
	v_ashrrev_i32_e32 v2, 31, v1
	s_mov_b32 s2, exec_lo
	s_delay_alu instid0(VALU_DEP_1)
	v_cmpx_gt_u64_e64 s[12:13], v[1:2]
	s_cbranch_execz .LBB7_12
; %bb.1:
	s_cmp_eq_u64 s[6:7], 0
	s_cbranch_scc1 .LBB7_12
; %bb.2:
	v_or_b32_e32 v4, s17, v2
	v_mov_b32_e32 v3, 0
	s_delay_alu instid0(VALU_DEP_1) | instskip(SKIP_1) | instid1(SALU_CYCLE_1)
	v_cmp_ne_u64_e32 vcc_lo, 0, v[3:4]
                                        ; implicit-def: $vgpr3_vgpr4
	s_and_saveexec_b32 s2, vcc_lo
	s_xor_b32 s3, exec_lo, s2
	s_cbranch_execz .LBB7_4
; %bb.3:
	v_cvt_f32_u32_e32 v0, s16
	v_cvt_f32_u32_e32 v3, s17
	s_sub_u32 s2, 0, s16
	s_subb_u32 s11, 0, s17
	s_delay_alu instid0(VALU_DEP_1) | instskip(NEXT) | instid1(VALU_DEP_1)
	v_fmamk_f32 v0, v3, 0x4f800000, v0
	v_rcp_f32_e32 v0, v0
	s_waitcnt_depctr 0xfff
	v_mul_f32_e32 v0, 0x5f7ffffc, v0
	s_delay_alu instid0(VALU_DEP_1) | instskip(NEXT) | instid1(VALU_DEP_1)
	v_mul_f32_e32 v3, 0x2f800000, v0
	v_trunc_f32_e32 v3, v3
	s_delay_alu instid0(VALU_DEP_1) | instskip(SKIP_1) | instid1(VALU_DEP_2)
	v_fmamk_f32 v0, v3, 0xcf800000, v0
	v_cvt_u32_f32_e32 v3, v3
	v_cvt_u32_f32_e32 v0, v0
	s_delay_alu instid0(VALU_DEP_2) | instskip(NEXT) | instid1(VALU_DEP_2)
	v_mul_lo_u32 v4, s2, v3
	v_mul_hi_u32 v5, s2, v0
	v_mul_lo_u32 v6, s11, v0
	s_delay_alu instid0(VALU_DEP_2) | instskip(SKIP_1) | instid1(VALU_DEP_2)
	v_add_nc_u32_e32 v4, v5, v4
	v_mul_lo_u32 v5, s2, v0
	v_add_nc_u32_e32 v4, v4, v6
	s_delay_alu instid0(VALU_DEP_2) | instskip(NEXT) | instid1(VALU_DEP_2)
	v_mul_hi_u32 v6, v0, v5
	v_mul_lo_u32 v7, v0, v4
	v_mul_hi_u32 v8, v0, v4
	v_mul_hi_u32 v9, v3, v5
	v_mul_lo_u32 v5, v3, v5
	v_mul_hi_u32 v10, v3, v4
	v_mul_lo_u32 v4, v3, v4
	v_add_co_u32 v6, vcc_lo, v6, v7
	v_add_co_ci_u32_e32 v7, vcc_lo, 0, v8, vcc_lo
	s_delay_alu instid0(VALU_DEP_2) | instskip(NEXT) | instid1(VALU_DEP_2)
	v_add_co_u32 v5, vcc_lo, v6, v5
	v_add_co_ci_u32_e32 v5, vcc_lo, v7, v9, vcc_lo
	v_add_co_ci_u32_e32 v6, vcc_lo, 0, v10, vcc_lo
	s_delay_alu instid0(VALU_DEP_2) | instskip(NEXT) | instid1(VALU_DEP_2)
	v_add_co_u32 v4, vcc_lo, v5, v4
	v_add_co_ci_u32_e32 v5, vcc_lo, 0, v6, vcc_lo
	s_delay_alu instid0(VALU_DEP_2) | instskip(NEXT) | instid1(VALU_DEP_2)
	v_add_co_u32 v0, vcc_lo, v0, v4
	v_add_co_ci_u32_e32 v3, vcc_lo, v3, v5, vcc_lo
	s_delay_alu instid0(VALU_DEP_2) | instskip(SKIP_1) | instid1(VALU_DEP_3)
	v_mul_hi_u32 v4, s2, v0
	v_mul_lo_u32 v6, s11, v0
	v_mul_lo_u32 v5, s2, v3
	s_delay_alu instid0(VALU_DEP_1) | instskip(SKIP_1) | instid1(VALU_DEP_2)
	v_add_nc_u32_e32 v4, v4, v5
	v_mul_lo_u32 v5, s2, v0
	v_add_nc_u32_e32 v4, v4, v6
	s_delay_alu instid0(VALU_DEP_2) | instskip(NEXT) | instid1(VALU_DEP_2)
	v_mul_hi_u32 v6, v0, v5
	v_mul_lo_u32 v7, v0, v4
	v_mul_hi_u32 v8, v0, v4
	v_mul_hi_u32 v9, v3, v5
	v_mul_lo_u32 v5, v3, v5
	v_mul_hi_u32 v10, v3, v4
	v_mul_lo_u32 v4, v3, v4
	v_add_co_u32 v6, vcc_lo, v6, v7
	v_add_co_ci_u32_e32 v7, vcc_lo, 0, v8, vcc_lo
	s_delay_alu instid0(VALU_DEP_2) | instskip(NEXT) | instid1(VALU_DEP_2)
	v_add_co_u32 v5, vcc_lo, v6, v5
	v_add_co_ci_u32_e32 v5, vcc_lo, v7, v9, vcc_lo
	v_add_co_ci_u32_e32 v6, vcc_lo, 0, v10, vcc_lo
	s_delay_alu instid0(VALU_DEP_2) | instskip(NEXT) | instid1(VALU_DEP_2)
	v_add_co_u32 v4, vcc_lo, v5, v4
	v_add_co_ci_u32_e32 v5, vcc_lo, 0, v6, vcc_lo
	s_delay_alu instid0(VALU_DEP_2) | instskip(NEXT) | instid1(VALU_DEP_2)
	v_add_co_u32 v0, vcc_lo, v0, v4
	v_add_co_ci_u32_e32 v9, vcc_lo, v3, v5, vcc_lo
	s_delay_alu instid0(VALU_DEP_2) | instskip(SKIP_1) | instid1(VALU_DEP_3)
	v_mul_hi_u32 v10, v1, v0
	v_mad_u64_u32 v[5:6], null, v2, v0, 0
	v_mad_u64_u32 v[3:4], null, v1, v9, 0
	;; [unrolled: 1-line block ×3, first 2 shown]
	s_delay_alu instid0(VALU_DEP_2) | instskip(NEXT) | instid1(VALU_DEP_3)
	v_add_co_u32 v0, vcc_lo, v10, v3
	v_add_co_ci_u32_e32 v3, vcc_lo, 0, v4, vcc_lo
	s_delay_alu instid0(VALU_DEP_2) | instskip(NEXT) | instid1(VALU_DEP_2)
	v_add_co_u32 v0, vcc_lo, v0, v5
	v_add_co_ci_u32_e32 v0, vcc_lo, v3, v6, vcc_lo
	v_add_co_ci_u32_e32 v3, vcc_lo, 0, v8, vcc_lo
	s_delay_alu instid0(VALU_DEP_2) | instskip(NEXT) | instid1(VALU_DEP_2)
	v_add_co_u32 v0, vcc_lo, v0, v7
	v_add_co_ci_u32_e32 v5, vcc_lo, 0, v3, vcc_lo
	s_delay_alu instid0(VALU_DEP_2) | instskip(SKIP_1) | instid1(VALU_DEP_3)
	v_mul_lo_u32 v6, s17, v0
	v_mad_u64_u32 v[3:4], null, s16, v0, 0
	v_mul_lo_u32 v7, s16, v5
	s_delay_alu instid0(VALU_DEP_2) | instskip(NEXT) | instid1(VALU_DEP_2)
	v_sub_co_u32 v3, vcc_lo, v1, v3
	v_add3_u32 v4, v4, v7, v6
	s_delay_alu instid0(VALU_DEP_1) | instskip(NEXT) | instid1(VALU_DEP_1)
	v_sub_nc_u32_e32 v6, v2, v4
	v_subrev_co_ci_u32_e64 v6, s2, s17, v6, vcc_lo
	v_add_co_u32 v7, s2, v0, 2
	s_delay_alu instid0(VALU_DEP_1) | instskip(SKIP_3) | instid1(VALU_DEP_3)
	v_add_co_ci_u32_e64 v8, s2, 0, v5, s2
	v_sub_co_u32 v9, s2, v3, s16
	v_sub_co_ci_u32_e32 v4, vcc_lo, v2, v4, vcc_lo
	v_subrev_co_ci_u32_e64 v6, s2, 0, v6, s2
	v_cmp_le_u32_e32 vcc_lo, s16, v9
	s_delay_alu instid0(VALU_DEP_3) | instskip(SKIP_1) | instid1(VALU_DEP_4)
	v_cmp_eq_u32_e64 s2, s17, v4
	v_cndmask_b32_e64 v9, 0, -1, vcc_lo
	v_cmp_le_u32_e32 vcc_lo, s17, v6
	v_cndmask_b32_e64 v10, 0, -1, vcc_lo
	v_cmp_le_u32_e32 vcc_lo, s16, v3
	;; [unrolled: 2-line block ×3, first 2 shown]
	v_cndmask_b32_e64 v11, 0, -1, vcc_lo
	v_cmp_eq_u32_e32 vcc_lo, s17, v6
	s_delay_alu instid0(VALU_DEP_2) | instskip(SKIP_3) | instid1(VALU_DEP_3)
	v_cndmask_b32_e64 v3, v11, v3, s2
	v_cndmask_b32_e32 v6, v10, v9, vcc_lo
	v_add_co_u32 v9, vcc_lo, v0, 1
	v_add_co_ci_u32_e32 v10, vcc_lo, 0, v5, vcc_lo
	v_cmp_ne_u32_e32 vcc_lo, 0, v6
	s_delay_alu instid0(VALU_DEP_2) | instskip(NEXT) | instid1(VALU_DEP_4)
	v_cndmask_b32_e32 v4, v10, v8, vcc_lo
	v_cndmask_b32_e32 v6, v9, v7, vcc_lo
	v_cmp_ne_u32_e32 vcc_lo, 0, v3
	s_delay_alu instid0(VALU_DEP_2)
	v_dual_cndmask_b32 v3, v0, v6 :: v_dual_cndmask_b32 v4, v5, v4
.LBB7_4:
	s_and_not1_saveexec_b32 s2, s3
	s_cbranch_execz .LBB7_6
; %bb.5:
	v_cvt_f32_u32_e32 v0, s16
	s_sub_i32 s3, 0, s16
	s_delay_alu instid0(VALU_DEP_1) | instskip(SKIP_2) | instid1(VALU_DEP_1)
	v_rcp_iflag_f32_e32 v0, v0
	s_waitcnt_depctr 0xfff
	v_mul_f32_e32 v0, 0x4f7ffffe, v0
	v_cvt_u32_f32_e32 v0, v0
	s_delay_alu instid0(VALU_DEP_1) | instskip(NEXT) | instid1(VALU_DEP_1)
	v_mul_lo_u32 v3, s3, v0
	v_mul_hi_u32 v3, v0, v3
	s_delay_alu instid0(VALU_DEP_1) | instskip(NEXT) | instid1(VALU_DEP_1)
	v_add_nc_u32_e32 v0, v0, v3
	v_mul_hi_u32 v0, v1, v0
	s_delay_alu instid0(VALU_DEP_1) | instskip(SKIP_1) | instid1(VALU_DEP_2)
	v_mul_lo_u32 v3, v0, s16
	v_add_nc_u32_e32 v4, 1, v0
	v_sub_nc_u32_e32 v3, v1, v3
	s_delay_alu instid0(VALU_DEP_1) | instskip(SKIP_1) | instid1(VALU_DEP_2)
	v_subrev_nc_u32_e32 v5, s16, v3
	v_cmp_le_u32_e32 vcc_lo, s16, v3
	v_dual_cndmask_b32 v3, v3, v5 :: v_dual_cndmask_b32 v0, v0, v4
	s_delay_alu instid0(VALU_DEP_1) | instskip(NEXT) | instid1(VALU_DEP_2)
	v_cmp_le_u32_e32 vcc_lo, s16, v3
	v_add_nc_u32_e32 v4, 1, v0
	s_delay_alu instid0(VALU_DEP_1)
	v_dual_cndmask_b32 v3, v0, v4 :: v_dual_mov_b32 v4, 0
.LBB7_6:
	s_or_b32 exec_lo, exec_lo, s2
	s_delay_alu instid0(VALU_DEP_1) | instskip(SKIP_1) | instid1(VALU_DEP_1)
	v_or_b32_e32 v6, s9, v4
	v_mov_b32_e32 v5, 0
	v_cmp_ne_u64_e32 vcc_lo, 0, v[5:6]
                                        ; implicit-def: $vgpr5_vgpr6
	s_and_saveexec_b32 s2, vcc_lo
	s_delay_alu instid0(SALU_CYCLE_1)
	s_xor_b32 s3, exec_lo, s2
	s_cbranch_execz .LBB7_8
; %bb.7:
	v_cvt_f32_u32_e32 v0, s8
	v_cvt_f32_u32_e32 v5, s9
	s_sub_u32 s2, 0, s8
	s_subb_u32 s11, 0, s9
	s_delay_alu instid0(VALU_DEP_1) | instskip(NEXT) | instid1(VALU_DEP_1)
	v_fmamk_f32 v0, v5, 0x4f800000, v0
	v_rcp_f32_e32 v0, v0
	s_waitcnt_depctr 0xfff
	v_mul_f32_e32 v0, 0x5f7ffffc, v0
	s_delay_alu instid0(VALU_DEP_1) | instskip(NEXT) | instid1(VALU_DEP_1)
	v_mul_f32_e32 v5, 0x2f800000, v0
	v_trunc_f32_e32 v5, v5
	s_delay_alu instid0(VALU_DEP_1) | instskip(SKIP_1) | instid1(VALU_DEP_2)
	v_fmamk_f32 v0, v5, 0xcf800000, v0
	v_cvt_u32_f32_e32 v5, v5
	v_cvt_u32_f32_e32 v0, v0
	s_delay_alu instid0(VALU_DEP_2) | instskip(NEXT) | instid1(VALU_DEP_2)
	v_mul_lo_u32 v6, s2, v5
	v_mul_hi_u32 v7, s2, v0
	v_mul_lo_u32 v8, s11, v0
	s_delay_alu instid0(VALU_DEP_2) | instskip(SKIP_1) | instid1(VALU_DEP_2)
	v_add_nc_u32_e32 v6, v7, v6
	v_mul_lo_u32 v7, s2, v0
	v_add_nc_u32_e32 v6, v6, v8
	s_delay_alu instid0(VALU_DEP_2) | instskip(NEXT) | instid1(VALU_DEP_2)
	v_mul_hi_u32 v8, v0, v7
	v_mul_lo_u32 v9, v0, v6
	v_mul_hi_u32 v10, v0, v6
	v_mul_hi_u32 v11, v5, v7
	v_mul_lo_u32 v7, v5, v7
	v_mul_hi_u32 v12, v5, v6
	v_mul_lo_u32 v6, v5, v6
	v_add_co_u32 v8, vcc_lo, v8, v9
	v_add_co_ci_u32_e32 v9, vcc_lo, 0, v10, vcc_lo
	s_delay_alu instid0(VALU_DEP_2) | instskip(NEXT) | instid1(VALU_DEP_2)
	v_add_co_u32 v7, vcc_lo, v8, v7
	v_add_co_ci_u32_e32 v7, vcc_lo, v9, v11, vcc_lo
	v_add_co_ci_u32_e32 v8, vcc_lo, 0, v12, vcc_lo
	s_delay_alu instid0(VALU_DEP_2) | instskip(NEXT) | instid1(VALU_DEP_2)
	v_add_co_u32 v6, vcc_lo, v7, v6
	v_add_co_ci_u32_e32 v7, vcc_lo, 0, v8, vcc_lo
	s_delay_alu instid0(VALU_DEP_2) | instskip(NEXT) | instid1(VALU_DEP_2)
	v_add_co_u32 v0, vcc_lo, v0, v6
	v_add_co_ci_u32_e32 v5, vcc_lo, v5, v7, vcc_lo
	s_delay_alu instid0(VALU_DEP_2) | instskip(SKIP_1) | instid1(VALU_DEP_3)
	v_mul_hi_u32 v6, s2, v0
	v_mul_lo_u32 v8, s11, v0
	v_mul_lo_u32 v7, s2, v5
	s_delay_alu instid0(VALU_DEP_1) | instskip(SKIP_1) | instid1(VALU_DEP_2)
	v_add_nc_u32_e32 v6, v6, v7
	v_mul_lo_u32 v7, s2, v0
	v_add_nc_u32_e32 v6, v6, v8
	s_delay_alu instid0(VALU_DEP_2) | instskip(NEXT) | instid1(VALU_DEP_2)
	v_mul_hi_u32 v8, v0, v7
	v_mul_lo_u32 v9, v0, v6
	v_mul_hi_u32 v10, v0, v6
	v_mul_hi_u32 v11, v5, v7
	v_mul_lo_u32 v7, v5, v7
	v_mul_hi_u32 v12, v5, v6
	v_mul_lo_u32 v6, v5, v6
	v_add_co_u32 v8, vcc_lo, v8, v9
	v_add_co_ci_u32_e32 v9, vcc_lo, 0, v10, vcc_lo
	s_delay_alu instid0(VALU_DEP_2) | instskip(NEXT) | instid1(VALU_DEP_2)
	v_add_co_u32 v7, vcc_lo, v8, v7
	v_add_co_ci_u32_e32 v7, vcc_lo, v9, v11, vcc_lo
	v_add_co_ci_u32_e32 v8, vcc_lo, 0, v12, vcc_lo
	s_delay_alu instid0(VALU_DEP_2) | instskip(NEXT) | instid1(VALU_DEP_2)
	v_add_co_u32 v6, vcc_lo, v7, v6
	v_add_co_ci_u32_e32 v7, vcc_lo, 0, v8, vcc_lo
	s_delay_alu instid0(VALU_DEP_2) | instskip(NEXT) | instid1(VALU_DEP_2)
	v_add_co_u32 v0, vcc_lo, v0, v6
	v_add_co_ci_u32_e32 v11, vcc_lo, v5, v7, vcc_lo
	s_delay_alu instid0(VALU_DEP_2) | instskip(SKIP_1) | instid1(VALU_DEP_3)
	v_mul_hi_u32 v12, v3, v0
	v_mad_u64_u32 v[7:8], null, v4, v0, 0
	v_mad_u64_u32 v[5:6], null, v3, v11, 0
	;; [unrolled: 1-line block ×3, first 2 shown]
	s_delay_alu instid0(VALU_DEP_2) | instskip(NEXT) | instid1(VALU_DEP_3)
	v_add_co_u32 v0, vcc_lo, v12, v5
	v_add_co_ci_u32_e32 v5, vcc_lo, 0, v6, vcc_lo
	s_delay_alu instid0(VALU_DEP_2) | instskip(NEXT) | instid1(VALU_DEP_2)
	v_add_co_u32 v0, vcc_lo, v0, v7
	v_add_co_ci_u32_e32 v0, vcc_lo, v5, v8, vcc_lo
	v_add_co_ci_u32_e32 v5, vcc_lo, 0, v10, vcc_lo
	s_delay_alu instid0(VALU_DEP_2) | instskip(NEXT) | instid1(VALU_DEP_2)
	v_add_co_u32 v0, vcc_lo, v0, v9
	v_add_co_ci_u32_e32 v7, vcc_lo, 0, v5, vcc_lo
	s_delay_alu instid0(VALU_DEP_2) | instskip(SKIP_1) | instid1(VALU_DEP_3)
	v_mul_lo_u32 v8, s9, v0
	v_mad_u64_u32 v[5:6], null, s8, v0, 0
	v_mul_lo_u32 v0, s8, v7
	s_delay_alu instid0(VALU_DEP_2) | instskip(NEXT) | instid1(VALU_DEP_2)
	v_sub_co_u32 v5, vcc_lo, v3, v5
	v_add3_u32 v0, v6, v0, v8
	s_delay_alu instid0(VALU_DEP_1) | instskip(NEXT) | instid1(VALU_DEP_1)
	v_sub_nc_u32_e32 v6, v4, v0
	v_subrev_co_ci_u32_e64 v6, s2, s9, v6, vcc_lo
	s_delay_alu instid0(VALU_DEP_4) | instskip(SKIP_1) | instid1(VALU_DEP_3)
	v_sub_co_u32 v7, s2, v5, s8
	v_sub_co_ci_u32_e32 v0, vcc_lo, v4, v0, vcc_lo
	v_subrev_co_ci_u32_e64 v6, s2, 0, v6, s2
	s_delay_alu instid0(VALU_DEP_3) | instskip(SKIP_1) | instid1(VALU_DEP_3)
	v_cmp_le_u32_e32 vcc_lo, s8, v7
	v_cndmask_b32_e64 v4, 0, -1, vcc_lo
	v_cmp_le_u32_e32 vcc_lo, s9, v6
	v_cndmask_b32_e64 v8, 0, -1, vcc_lo
	;; [unrolled: 2-line block ×4, first 2 shown]
	v_cmp_eq_u32_e32 vcc_lo, s9, v6
	v_cndmask_b32_e32 v4, v8, v4, vcc_lo
	v_sub_co_u32 v6, vcc_lo, v7, s8
	v_cmp_eq_u32_e32 vcc_lo, s9, v0
	v_cndmask_b32_e32 v0, v10, v9, vcc_lo
	s_delay_alu instid0(VALU_DEP_4) | instskip(NEXT) | instid1(VALU_DEP_4)
	v_cmp_ne_u32_e32 vcc_lo, 0, v4
	v_cndmask_b32_e32 v4, v7, v6, vcc_lo
	s_delay_alu instid0(VALU_DEP_3) | instskip(NEXT) | instid1(VALU_DEP_2)
	v_cmp_ne_u32_e32 vcc_lo, 0, v0
	v_cndmask_b32_e32 v5, v5, v4, vcc_lo
.LBB7_8:
	s_and_not1_saveexec_b32 s2, s3
	s_cbranch_execz .LBB7_10
; %bb.9:
	v_cvt_f32_u32_e32 v0, s8
	s_sub_i32 s3, 0, s8
	s_delay_alu instid0(VALU_DEP_1) | instskip(SKIP_2) | instid1(VALU_DEP_1)
	v_rcp_iflag_f32_e32 v0, v0
	s_waitcnt_depctr 0xfff
	v_mul_f32_e32 v0, 0x4f7ffffe, v0
	v_cvt_u32_f32_e32 v0, v0
	s_delay_alu instid0(VALU_DEP_1) | instskip(NEXT) | instid1(VALU_DEP_1)
	v_mul_lo_u32 v4, s3, v0
	v_mul_hi_u32 v4, v0, v4
	s_delay_alu instid0(VALU_DEP_1) | instskip(NEXT) | instid1(VALU_DEP_1)
	v_add_nc_u32_e32 v0, v0, v4
	v_mul_hi_u32 v0, v3, v0
	s_delay_alu instid0(VALU_DEP_1) | instskip(NEXT) | instid1(VALU_DEP_1)
	v_mul_lo_u32 v0, v0, s8
	v_sub_nc_u32_e32 v0, v3, v0
	s_delay_alu instid0(VALU_DEP_1) | instskip(SKIP_1) | instid1(VALU_DEP_2)
	v_subrev_nc_u32_e32 v4, s8, v0
	v_cmp_le_u32_e32 vcc_lo, s8, v0
	v_cndmask_b32_e32 v0, v0, v4, vcc_lo
	s_delay_alu instid0(VALU_DEP_1) | instskip(SKIP_1) | instid1(VALU_DEP_2)
	v_subrev_nc_u32_e32 v4, s8, v0
	v_cmp_le_u32_e32 vcc_lo, s8, v0
	v_cndmask_b32_e32 v5, v0, v4, vcc_lo
.LBB7_10:
	s_or_b32 exec_lo, exec_lo, s2
	v_mul_lo_u32 v0, v3, s16
	s_load_b32 s0, s[0:1], 0x30
	v_lshlrev_b64 v[6:7], 1, v[1:2]
	s_bfe_i64 s[2:3], s[12:13], 0x200000
	s_mul_i32 s1, s10, s8
	s_lshl_b64 s[2:3], s[2:3], 1
	s_mov_b64 s[8:9], 0
	s_delay_alu instid0(VALU_DEP_1) | instskip(SKIP_1) | instid1(VALU_DEP_1)
	v_add_co_u32 v2, vcc_lo, s18, v6
	v_sub_nc_u32_e32 v0, v1, v0
	v_cvt_f32_i32_e32 v0, v0
	s_delay_alu instid0(VALU_DEP_1) | instskip(SKIP_1) | instid1(VALU_DEP_1)
	v_add_f32_e32 v0, 0.5, v0
	s_waitcnt lgkmcnt(0)
	v_mul_f32_e32 v0, s0, v0
	s_add_i32 s0, s10, -1
	s_delay_alu instid0(VALU_DEP_1) | instskip(NEXT) | instid1(VALU_DEP_1)
	v_floor_f32_e32 v0, v0
	v_cvt_i32_f32_e32 v0, v0
	s_delay_alu instid0(VALU_DEP_1) | instskip(NEXT) | instid1(VALU_DEP_1)
	v_min_i32_e32 v3, s0, v0
	v_mad_u64_u32 v[0:1], null, v5, s10, v[3:4]
	v_add_co_ci_u32_e32 v3, vcc_lo, s19, v7, vcc_lo
	.p2align	6
.LBB7_11:                               ; =>This Inner Loop Header: Depth=1
	s_delay_alu instid0(VALU_DEP_2) | instskip(SKIP_2) | instid1(SALU_CYCLE_1)
	v_ashrrev_i32_e32 v1, 31, v0
	s_add_u32 s8, s8, 1
	s_addc_u32 s9, s9, 0
	v_cmp_lt_u64_e64 s0, s[8:9], s[6:7]
	s_delay_alu instid0(VALU_DEP_2) | instskip(SKIP_1) | instid1(VALU_DEP_2)
	v_lshlrev_b64 v[4:5], 1, v[0:1]
	v_add_nc_u32_e32 v0, s1, v0
	v_add_co_u32 v4, vcc_lo, s4, v4
	s_delay_alu instid0(VALU_DEP_3)
	v_add_co_ci_u32_e32 v5, vcc_lo, s5, v5, vcc_lo
	s_and_b32 vcc_lo, exec_lo, s0
	global_load_u16 v1, v[4:5], off
	s_waitcnt vmcnt(0)
	global_store_b16 v[2:3], v1, off
	v_add_co_u32 v2, s0, v2, s2
	s_delay_alu instid0(VALU_DEP_1)
	v_add_co_ci_u32_e64 v3, s0, s3, v3, s0
	s_cbranch_vccnz .LBB7_11
.LBB7_12:
	s_nop 0
	s_sendmsg sendmsg(MSG_DEALLOC_VGPRS)
	s_endpgm
	.section	.rodata,"a",@progbits
	.p2align	6, 0x0
	.amdhsa_kernel _ZN2at6native12_GLOBAL__N_128upsample_nearest1d_out_frameIN3c104HalfEXadL_ZNS0_43nearest_neighbor_exact_compute_source_indexEfiiEEEEvPKT_mmmmPS5_f
		.amdhsa_group_segment_fixed_size 0
		.amdhsa_private_segment_fixed_size 0
		.amdhsa_kernarg_size 312
		.amdhsa_user_sgpr_count 15
		.amdhsa_user_sgpr_dispatch_ptr 0
		.amdhsa_user_sgpr_queue_ptr 0
		.amdhsa_user_sgpr_kernarg_segment_ptr 1
		.amdhsa_user_sgpr_dispatch_id 0
		.amdhsa_user_sgpr_private_segment_size 0
		.amdhsa_wavefront_size32 1
		.amdhsa_uses_dynamic_stack 0
		.amdhsa_enable_private_segment 0
		.amdhsa_system_sgpr_workgroup_id_x 1
		.amdhsa_system_sgpr_workgroup_id_y 0
		.amdhsa_system_sgpr_workgroup_id_z 0
		.amdhsa_system_sgpr_workgroup_info 0
		.amdhsa_system_vgpr_workitem_id 0
		.amdhsa_next_free_vgpr 13
		.amdhsa_next_free_sgpr 20
		.amdhsa_reserve_vcc 1
		.amdhsa_float_round_mode_32 0
		.amdhsa_float_round_mode_16_64 0
		.amdhsa_float_denorm_mode_32 3
		.amdhsa_float_denorm_mode_16_64 3
		.amdhsa_dx10_clamp 1
		.amdhsa_ieee_mode 1
		.amdhsa_fp16_overflow 0
		.amdhsa_workgroup_processor_mode 1
		.amdhsa_memory_ordered 1
		.amdhsa_forward_progress 0
		.amdhsa_shared_vgpr_count 0
		.amdhsa_exception_fp_ieee_invalid_op 0
		.amdhsa_exception_fp_denorm_src 0
		.amdhsa_exception_fp_ieee_div_zero 0
		.amdhsa_exception_fp_ieee_overflow 0
		.amdhsa_exception_fp_ieee_underflow 0
		.amdhsa_exception_fp_ieee_inexact 0
		.amdhsa_exception_int_div_zero 0
	.end_amdhsa_kernel
	.section	.text._ZN2at6native12_GLOBAL__N_128upsample_nearest1d_out_frameIN3c104HalfEXadL_ZNS0_43nearest_neighbor_exact_compute_source_indexEfiiEEEEvPKT_mmmmPS5_f,"axG",@progbits,_ZN2at6native12_GLOBAL__N_128upsample_nearest1d_out_frameIN3c104HalfEXadL_ZNS0_43nearest_neighbor_exact_compute_source_indexEfiiEEEEvPKT_mmmmPS5_f,comdat
.Lfunc_end7:
	.size	_ZN2at6native12_GLOBAL__N_128upsample_nearest1d_out_frameIN3c104HalfEXadL_ZNS0_43nearest_neighbor_exact_compute_source_indexEfiiEEEEvPKT_mmmmPS5_f, .Lfunc_end7-_ZN2at6native12_GLOBAL__N_128upsample_nearest1d_out_frameIN3c104HalfEXadL_ZNS0_43nearest_neighbor_exact_compute_source_indexEfiiEEEEvPKT_mmmmPS5_f
                                        ; -- End function
	.section	.AMDGPU.csdata,"",@progbits
; Kernel info:
; codeLenInByte = 2116
; NumSgprs: 22
; NumVgprs: 13
; ScratchSize: 0
; MemoryBound: 0
; FloatMode: 240
; IeeeMode: 1
; LDSByteSize: 0 bytes/workgroup (compile time only)
; SGPRBlocks: 2
; VGPRBlocks: 1
; NumSGPRsForWavesPerEU: 22
; NumVGPRsForWavesPerEU: 13
; Occupancy: 16
; WaveLimiterHint : 0
; COMPUTE_PGM_RSRC2:SCRATCH_EN: 0
; COMPUTE_PGM_RSRC2:USER_SGPR: 15
; COMPUTE_PGM_RSRC2:TRAP_HANDLER: 0
; COMPUTE_PGM_RSRC2:TGID_X_EN: 1
; COMPUTE_PGM_RSRC2:TGID_Y_EN: 0
; COMPUTE_PGM_RSRC2:TGID_Z_EN: 0
; COMPUTE_PGM_RSRC2:TIDIG_COMP_CNT: 0
	.section	.text._ZN2at6native12_GLOBAL__N_128upsample_nearest1d_out_frameIN3c108BFloat16EXadL_ZNS0_43nearest_neighbor_exact_compute_source_indexEfiiEEEEvPKT_mmmmPS5_f,"axG",@progbits,_ZN2at6native12_GLOBAL__N_128upsample_nearest1d_out_frameIN3c108BFloat16EXadL_ZNS0_43nearest_neighbor_exact_compute_source_indexEfiiEEEEvPKT_mmmmPS5_f,comdat
	.globl	_ZN2at6native12_GLOBAL__N_128upsample_nearest1d_out_frameIN3c108BFloat16EXadL_ZNS0_43nearest_neighbor_exact_compute_source_indexEfiiEEEEvPKT_mmmmPS5_f ; -- Begin function _ZN2at6native12_GLOBAL__N_128upsample_nearest1d_out_frameIN3c108BFloat16EXadL_ZNS0_43nearest_neighbor_exact_compute_source_indexEfiiEEEEvPKT_mmmmPS5_f
	.p2align	8
	.type	_ZN2at6native12_GLOBAL__N_128upsample_nearest1d_out_frameIN3c108BFloat16EXadL_ZNS0_43nearest_neighbor_exact_compute_source_indexEfiiEEEEvPKT_mmmmPS5_f,@function
_ZN2at6native12_GLOBAL__N_128upsample_nearest1d_out_frameIN3c108BFloat16EXadL_ZNS0_43nearest_neighbor_exact_compute_source_indexEfiiEEEEvPKT_mmmmPS5_f: ; @_ZN2at6native12_GLOBAL__N_128upsample_nearest1d_out_frameIN3c108BFloat16EXadL_ZNS0_43nearest_neighbor_exact_compute_source_indexEfiiEEEEvPKT_mmmmPS5_f
; %bb.0:
	s_clause 0x2
	s_load_b32 s2, s[0:1], 0x44
	s_load_b128 s[16:19], s[0:1], 0x20
	s_load_b256 s[4:11], s[0:1], 0x0
	s_waitcnt lgkmcnt(0)
	s_and_b32 s2, s2, 0xffff
	s_delay_alu instid0(SALU_CYCLE_1)
	v_mad_u64_u32 v[1:2], null, s15, s2, v[0:1]
	s_mul_i32 s2, s16, s9
	s_mul_hi_u32 s3, s16, s8
	s_mul_i32 s12, s16, s8
	s_add_i32 s2, s3, s2
	s_mul_i32 s3, s17, s8
	s_delay_alu instid0(SALU_CYCLE_1) | instskip(NEXT) | instid1(VALU_DEP_1)
	s_add_i32 s13, s2, s3
	v_ashrrev_i32_e32 v2, 31, v1
	s_mov_b32 s2, exec_lo
	s_delay_alu instid0(VALU_DEP_1)
	v_cmpx_gt_u64_e64 s[12:13], v[1:2]
	s_cbranch_execz .LBB8_12
; %bb.1:
	s_cmp_eq_u64 s[6:7], 0
	s_cbranch_scc1 .LBB8_12
; %bb.2:
	v_or_b32_e32 v4, s17, v2
	v_mov_b32_e32 v3, 0
	s_delay_alu instid0(VALU_DEP_1) | instskip(SKIP_1) | instid1(SALU_CYCLE_1)
	v_cmp_ne_u64_e32 vcc_lo, 0, v[3:4]
                                        ; implicit-def: $vgpr3_vgpr4
	s_and_saveexec_b32 s2, vcc_lo
	s_xor_b32 s3, exec_lo, s2
	s_cbranch_execz .LBB8_4
; %bb.3:
	v_cvt_f32_u32_e32 v0, s16
	v_cvt_f32_u32_e32 v3, s17
	s_sub_u32 s2, 0, s16
	s_subb_u32 s11, 0, s17
	s_delay_alu instid0(VALU_DEP_1) | instskip(NEXT) | instid1(VALU_DEP_1)
	v_fmamk_f32 v0, v3, 0x4f800000, v0
	v_rcp_f32_e32 v0, v0
	s_waitcnt_depctr 0xfff
	v_mul_f32_e32 v0, 0x5f7ffffc, v0
	s_delay_alu instid0(VALU_DEP_1) | instskip(NEXT) | instid1(VALU_DEP_1)
	v_mul_f32_e32 v3, 0x2f800000, v0
	v_trunc_f32_e32 v3, v3
	s_delay_alu instid0(VALU_DEP_1) | instskip(SKIP_1) | instid1(VALU_DEP_2)
	v_fmamk_f32 v0, v3, 0xcf800000, v0
	v_cvt_u32_f32_e32 v3, v3
	v_cvt_u32_f32_e32 v0, v0
	s_delay_alu instid0(VALU_DEP_2) | instskip(NEXT) | instid1(VALU_DEP_2)
	v_mul_lo_u32 v4, s2, v3
	v_mul_hi_u32 v5, s2, v0
	v_mul_lo_u32 v6, s11, v0
	s_delay_alu instid0(VALU_DEP_2) | instskip(SKIP_1) | instid1(VALU_DEP_2)
	v_add_nc_u32_e32 v4, v5, v4
	v_mul_lo_u32 v5, s2, v0
	v_add_nc_u32_e32 v4, v4, v6
	s_delay_alu instid0(VALU_DEP_2) | instskip(NEXT) | instid1(VALU_DEP_2)
	v_mul_hi_u32 v6, v0, v5
	v_mul_lo_u32 v7, v0, v4
	v_mul_hi_u32 v8, v0, v4
	v_mul_hi_u32 v9, v3, v5
	v_mul_lo_u32 v5, v3, v5
	v_mul_hi_u32 v10, v3, v4
	v_mul_lo_u32 v4, v3, v4
	v_add_co_u32 v6, vcc_lo, v6, v7
	v_add_co_ci_u32_e32 v7, vcc_lo, 0, v8, vcc_lo
	s_delay_alu instid0(VALU_DEP_2) | instskip(NEXT) | instid1(VALU_DEP_2)
	v_add_co_u32 v5, vcc_lo, v6, v5
	v_add_co_ci_u32_e32 v5, vcc_lo, v7, v9, vcc_lo
	v_add_co_ci_u32_e32 v6, vcc_lo, 0, v10, vcc_lo
	s_delay_alu instid0(VALU_DEP_2) | instskip(NEXT) | instid1(VALU_DEP_2)
	v_add_co_u32 v4, vcc_lo, v5, v4
	v_add_co_ci_u32_e32 v5, vcc_lo, 0, v6, vcc_lo
	s_delay_alu instid0(VALU_DEP_2) | instskip(NEXT) | instid1(VALU_DEP_2)
	v_add_co_u32 v0, vcc_lo, v0, v4
	v_add_co_ci_u32_e32 v3, vcc_lo, v3, v5, vcc_lo
	s_delay_alu instid0(VALU_DEP_2) | instskip(SKIP_1) | instid1(VALU_DEP_3)
	v_mul_hi_u32 v4, s2, v0
	v_mul_lo_u32 v6, s11, v0
	v_mul_lo_u32 v5, s2, v3
	s_delay_alu instid0(VALU_DEP_1) | instskip(SKIP_1) | instid1(VALU_DEP_2)
	v_add_nc_u32_e32 v4, v4, v5
	v_mul_lo_u32 v5, s2, v0
	v_add_nc_u32_e32 v4, v4, v6
	s_delay_alu instid0(VALU_DEP_2) | instskip(NEXT) | instid1(VALU_DEP_2)
	v_mul_hi_u32 v6, v0, v5
	v_mul_lo_u32 v7, v0, v4
	v_mul_hi_u32 v8, v0, v4
	v_mul_hi_u32 v9, v3, v5
	v_mul_lo_u32 v5, v3, v5
	v_mul_hi_u32 v10, v3, v4
	v_mul_lo_u32 v4, v3, v4
	v_add_co_u32 v6, vcc_lo, v6, v7
	v_add_co_ci_u32_e32 v7, vcc_lo, 0, v8, vcc_lo
	s_delay_alu instid0(VALU_DEP_2) | instskip(NEXT) | instid1(VALU_DEP_2)
	v_add_co_u32 v5, vcc_lo, v6, v5
	v_add_co_ci_u32_e32 v5, vcc_lo, v7, v9, vcc_lo
	v_add_co_ci_u32_e32 v6, vcc_lo, 0, v10, vcc_lo
	s_delay_alu instid0(VALU_DEP_2) | instskip(NEXT) | instid1(VALU_DEP_2)
	v_add_co_u32 v4, vcc_lo, v5, v4
	v_add_co_ci_u32_e32 v5, vcc_lo, 0, v6, vcc_lo
	s_delay_alu instid0(VALU_DEP_2) | instskip(NEXT) | instid1(VALU_DEP_2)
	v_add_co_u32 v0, vcc_lo, v0, v4
	v_add_co_ci_u32_e32 v9, vcc_lo, v3, v5, vcc_lo
	s_delay_alu instid0(VALU_DEP_2) | instskip(SKIP_1) | instid1(VALU_DEP_3)
	v_mul_hi_u32 v10, v1, v0
	v_mad_u64_u32 v[5:6], null, v2, v0, 0
	v_mad_u64_u32 v[3:4], null, v1, v9, 0
	;; [unrolled: 1-line block ×3, first 2 shown]
	s_delay_alu instid0(VALU_DEP_2) | instskip(NEXT) | instid1(VALU_DEP_3)
	v_add_co_u32 v0, vcc_lo, v10, v3
	v_add_co_ci_u32_e32 v3, vcc_lo, 0, v4, vcc_lo
	s_delay_alu instid0(VALU_DEP_2) | instskip(NEXT) | instid1(VALU_DEP_2)
	v_add_co_u32 v0, vcc_lo, v0, v5
	v_add_co_ci_u32_e32 v0, vcc_lo, v3, v6, vcc_lo
	v_add_co_ci_u32_e32 v3, vcc_lo, 0, v8, vcc_lo
	s_delay_alu instid0(VALU_DEP_2) | instskip(NEXT) | instid1(VALU_DEP_2)
	v_add_co_u32 v0, vcc_lo, v0, v7
	v_add_co_ci_u32_e32 v5, vcc_lo, 0, v3, vcc_lo
	s_delay_alu instid0(VALU_DEP_2) | instskip(SKIP_1) | instid1(VALU_DEP_3)
	v_mul_lo_u32 v6, s17, v0
	v_mad_u64_u32 v[3:4], null, s16, v0, 0
	v_mul_lo_u32 v7, s16, v5
	s_delay_alu instid0(VALU_DEP_2) | instskip(NEXT) | instid1(VALU_DEP_2)
	v_sub_co_u32 v3, vcc_lo, v1, v3
	v_add3_u32 v4, v4, v7, v6
	s_delay_alu instid0(VALU_DEP_1) | instskip(NEXT) | instid1(VALU_DEP_1)
	v_sub_nc_u32_e32 v6, v2, v4
	v_subrev_co_ci_u32_e64 v6, s2, s17, v6, vcc_lo
	v_add_co_u32 v7, s2, v0, 2
	s_delay_alu instid0(VALU_DEP_1) | instskip(SKIP_3) | instid1(VALU_DEP_3)
	v_add_co_ci_u32_e64 v8, s2, 0, v5, s2
	v_sub_co_u32 v9, s2, v3, s16
	v_sub_co_ci_u32_e32 v4, vcc_lo, v2, v4, vcc_lo
	v_subrev_co_ci_u32_e64 v6, s2, 0, v6, s2
	v_cmp_le_u32_e32 vcc_lo, s16, v9
	s_delay_alu instid0(VALU_DEP_3) | instskip(SKIP_1) | instid1(VALU_DEP_4)
	v_cmp_eq_u32_e64 s2, s17, v4
	v_cndmask_b32_e64 v9, 0, -1, vcc_lo
	v_cmp_le_u32_e32 vcc_lo, s17, v6
	v_cndmask_b32_e64 v10, 0, -1, vcc_lo
	v_cmp_le_u32_e32 vcc_lo, s16, v3
	;; [unrolled: 2-line block ×3, first 2 shown]
	v_cndmask_b32_e64 v11, 0, -1, vcc_lo
	v_cmp_eq_u32_e32 vcc_lo, s17, v6
	s_delay_alu instid0(VALU_DEP_2) | instskip(SKIP_3) | instid1(VALU_DEP_3)
	v_cndmask_b32_e64 v3, v11, v3, s2
	v_cndmask_b32_e32 v6, v10, v9, vcc_lo
	v_add_co_u32 v9, vcc_lo, v0, 1
	v_add_co_ci_u32_e32 v10, vcc_lo, 0, v5, vcc_lo
	v_cmp_ne_u32_e32 vcc_lo, 0, v6
	s_delay_alu instid0(VALU_DEP_2) | instskip(NEXT) | instid1(VALU_DEP_4)
	v_cndmask_b32_e32 v4, v10, v8, vcc_lo
	v_cndmask_b32_e32 v6, v9, v7, vcc_lo
	v_cmp_ne_u32_e32 vcc_lo, 0, v3
	s_delay_alu instid0(VALU_DEP_2)
	v_dual_cndmask_b32 v3, v0, v6 :: v_dual_cndmask_b32 v4, v5, v4
.LBB8_4:
	s_and_not1_saveexec_b32 s2, s3
	s_cbranch_execz .LBB8_6
; %bb.5:
	v_cvt_f32_u32_e32 v0, s16
	s_sub_i32 s3, 0, s16
	s_delay_alu instid0(VALU_DEP_1) | instskip(SKIP_2) | instid1(VALU_DEP_1)
	v_rcp_iflag_f32_e32 v0, v0
	s_waitcnt_depctr 0xfff
	v_mul_f32_e32 v0, 0x4f7ffffe, v0
	v_cvt_u32_f32_e32 v0, v0
	s_delay_alu instid0(VALU_DEP_1) | instskip(NEXT) | instid1(VALU_DEP_1)
	v_mul_lo_u32 v3, s3, v0
	v_mul_hi_u32 v3, v0, v3
	s_delay_alu instid0(VALU_DEP_1) | instskip(NEXT) | instid1(VALU_DEP_1)
	v_add_nc_u32_e32 v0, v0, v3
	v_mul_hi_u32 v0, v1, v0
	s_delay_alu instid0(VALU_DEP_1) | instskip(SKIP_1) | instid1(VALU_DEP_2)
	v_mul_lo_u32 v3, v0, s16
	v_add_nc_u32_e32 v4, 1, v0
	v_sub_nc_u32_e32 v3, v1, v3
	s_delay_alu instid0(VALU_DEP_1) | instskip(SKIP_1) | instid1(VALU_DEP_2)
	v_subrev_nc_u32_e32 v5, s16, v3
	v_cmp_le_u32_e32 vcc_lo, s16, v3
	v_dual_cndmask_b32 v3, v3, v5 :: v_dual_cndmask_b32 v0, v0, v4
	s_delay_alu instid0(VALU_DEP_1) | instskip(NEXT) | instid1(VALU_DEP_2)
	v_cmp_le_u32_e32 vcc_lo, s16, v3
	v_add_nc_u32_e32 v4, 1, v0
	s_delay_alu instid0(VALU_DEP_1)
	v_dual_cndmask_b32 v3, v0, v4 :: v_dual_mov_b32 v4, 0
.LBB8_6:
	s_or_b32 exec_lo, exec_lo, s2
	s_delay_alu instid0(VALU_DEP_1) | instskip(SKIP_1) | instid1(VALU_DEP_1)
	v_or_b32_e32 v6, s9, v4
	v_mov_b32_e32 v5, 0
	v_cmp_ne_u64_e32 vcc_lo, 0, v[5:6]
                                        ; implicit-def: $vgpr5_vgpr6
	s_and_saveexec_b32 s2, vcc_lo
	s_delay_alu instid0(SALU_CYCLE_1)
	s_xor_b32 s3, exec_lo, s2
	s_cbranch_execz .LBB8_8
; %bb.7:
	v_cvt_f32_u32_e32 v0, s8
	v_cvt_f32_u32_e32 v5, s9
	s_sub_u32 s2, 0, s8
	s_subb_u32 s11, 0, s9
	s_delay_alu instid0(VALU_DEP_1) | instskip(NEXT) | instid1(VALU_DEP_1)
	v_fmamk_f32 v0, v5, 0x4f800000, v0
	v_rcp_f32_e32 v0, v0
	s_waitcnt_depctr 0xfff
	v_mul_f32_e32 v0, 0x5f7ffffc, v0
	s_delay_alu instid0(VALU_DEP_1) | instskip(NEXT) | instid1(VALU_DEP_1)
	v_mul_f32_e32 v5, 0x2f800000, v0
	v_trunc_f32_e32 v5, v5
	s_delay_alu instid0(VALU_DEP_1) | instskip(SKIP_1) | instid1(VALU_DEP_2)
	v_fmamk_f32 v0, v5, 0xcf800000, v0
	v_cvt_u32_f32_e32 v5, v5
	v_cvt_u32_f32_e32 v0, v0
	s_delay_alu instid0(VALU_DEP_2) | instskip(NEXT) | instid1(VALU_DEP_2)
	v_mul_lo_u32 v6, s2, v5
	v_mul_hi_u32 v7, s2, v0
	v_mul_lo_u32 v8, s11, v0
	s_delay_alu instid0(VALU_DEP_2) | instskip(SKIP_1) | instid1(VALU_DEP_2)
	v_add_nc_u32_e32 v6, v7, v6
	v_mul_lo_u32 v7, s2, v0
	v_add_nc_u32_e32 v6, v6, v8
	s_delay_alu instid0(VALU_DEP_2) | instskip(NEXT) | instid1(VALU_DEP_2)
	v_mul_hi_u32 v8, v0, v7
	v_mul_lo_u32 v9, v0, v6
	v_mul_hi_u32 v10, v0, v6
	v_mul_hi_u32 v11, v5, v7
	v_mul_lo_u32 v7, v5, v7
	v_mul_hi_u32 v12, v5, v6
	v_mul_lo_u32 v6, v5, v6
	v_add_co_u32 v8, vcc_lo, v8, v9
	v_add_co_ci_u32_e32 v9, vcc_lo, 0, v10, vcc_lo
	s_delay_alu instid0(VALU_DEP_2) | instskip(NEXT) | instid1(VALU_DEP_2)
	v_add_co_u32 v7, vcc_lo, v8, v7
	v_add_co_ci_u32_e32 v7, vcc_lo, v9, v11, vcc_lo
	v_add_co_ci_u32_e32 v8, vcc_lo, 0, v12, vcc_lo
	s_delay_alu instid0(VALU_DEP_2) | instskip(NEXT) | instid1(VALU_DEP_2)
	v_add_co_u32 v6, vcc_lo, v7, v6
	v_add_co_ci_u32_e32 v7, vcc_lo, 0, v8, vcc_lo
	s_delay_alu instid0(VALU_DEP_2) | instskip(NEXT) | instid1(VALU_DEP_2)
	v_add_co_u32 v0, vcc_lo, v0, v6
	v_add_co_ci_u32_e32 v5, vcc_lo, v5, v7, vcc_lo
	s_delay_alu instid0(VALU_DEP_2) | instskip(SKIP_1) | instid1(VALU_DEP_3)
	v_mul_hi_u32 v6, s2, v0
	v_mul_lo_u32 v8, s11, v0
	v_mul_lo_u32 v7, s2, v5
	s_delay_alu instid0(VALU_DEP_1) | instskip(SKIP_1) | instid1(VALU_DEP_2)
	v_add_nc_u32_e32 v6, v6, v7
	v_mul_lo_u32 v7, s2, v0
	v_add_nc_u32_e32 v6, v6, v8
	s_delay_alu instid0(VALU_DEP_2) | instskip(NEXT) | instid1(VALU_DEP_2)
	v_mul_hi_u32 v8, v0, v7
	v_mul_lo_u32 v9, v0, v6
	v_mul_hi_u32 v10, v0, v6
	v_mul_hi_u32 v11, v5, v7
	v_mul_lo_u32 v7, v5, v7
	v_mul_hi_u32 v12, v5, v6
	v_mul_lo_u32 v6, v5, v6
	v_add_co_u32 v8, vcc_lo, v8, v9
	v_add_co_ci_u32_e32 v9, vcc_lo, 0, v10, vcc_lo
	s_delay_alu instid0(VALU_DEP_2) | instskip(NEXT) | instid1(VALU_DEP_2)
	v_add_co_u32 v7, vcc_lo, v8, v7
	v_add_co_ci_u32_e32 v7, vcc_lo, v9, v11, vcc_lo
	v_add_co_ci_u32_e32 v8, vcc_lo, 0, v12, vcc_lo
	s_delay_alu instid0(VALU_DEP_2) | instskip(NEXT) | instid1(VALU_DEP_2)
	v_add_co_u32 v6, vcc_lo, v7, v6
	v_add_co_ci_u32_e32 v7, vcc_lo, 0, v8, vcc_lo
	s_delay_alu instid0(VALU_DEP_2) | instskip(NEXT) | instid1(VALU_DEP_2)
	v_add_co_u32 v0, vcc_lo, v0, v6
	v_add_co_ci_u32_e32 v11, vcc_lo, v5, v7, vcc_lo
	s_delay_alu instid0(VALU_DEP_2) | instskip(SKIP_1) | instid1(VALU_DEP_3)
	v_mul_hi_u32 v12, v3, v0
	v_mad_u64_u32 v[7:8], null, v4, v0, 0
	v_mad_u64_u32 v[5:6], null, v3, v11, 0
	;; [unrolled: 1-line block ×3, first 2 shown]
	s_delay_alu instid0(VALU_DEP_2) | instskip(NEXT) | instid1(VALU_DEP_3)
	v_add_co_u32 v0, vcc_lo, v12, v5
	v_add_co_ci_u32_e32 v5, vcc_lo, 0, v6, vcc_lo
	s_delay_alu instid0(VALU_DEP_2) | instskip(NEXT) | instid1(VALU_DEP_2)
	v_add_co_u32 v0, vcc_lo, v0, v7
	v_add_co_ci_u32_e32 v0, vcc_lo, v5, v8, vcc_lo
	v_add_co_ci_u32_e32 v5, vcc_lo, 0, v10, vcc_lo
	s_delay_alu instid0(VALU_DEP_2) | instskip(NEXT) | instid1(VALU_DEP_2)
	v_add_co_u32 v0, vcc_lo, v0, v9
	v_add_co_ci_u32_e32 v7, vcc_lo, 0, v5, vcc_lo
	s_delay_alu instid0(VALU_DEP_2) | instskip(SKIP_1) | instid1(VALU_DEP_3)
	v_mul_lo_u32 v8, s9, v0
	v_mad_u64_u32 v[5:6], null, s8, v0, 0
	v_mul_lo_u32 v0, s8, v7
	s_delay_alu instid0(VALU_DEP_2) | instskip(NEXT) | instid1(VALU_DEP_2)
	v_sub_co_u32 v5, vcc_lo, v3, v5
	v_add3_u32 v0, v6, v0, v8
	s_delay_alu instid0(VALU_DEP_1) | instskip(NEXT) | instid1(VALU_DEP_1)
	v_sub_nc_u32_e32 v6, v4, v0
	v_subrev_co_ci_u32_e64 v6, s2, s9, v6, vcc_lo
	s_delay_alu instid0(VALU_DEP_4) | instskip(SKIP_1) | instid1(VALU_DEP_3)
	v_sub_co_u32 v7, s2, v5, s8
	v_sub_co_ci_u32_e32 v0, vcc_lo, v4, v0, vcc_lo
	v_subrev_co_ci_u32_e64 v6, s2, 0, v6, s2
	s_delay_alu instid0(VALU_DEP_3) | instskip(SKIP_1) | instid1(VALU_DEP_3)
	v_cmp_le_u32_e32 vcc_lo, s8, v7
	v_cndmask_b32_e64 v4, 0, -1, vcc_lo
	v_cmp_le_u32_e32 vcc_lo, s9, v6
	v_cndmask_b32_e64 v8, 0, -1, vcc_lo
	;; [unrolled: 2-line block ×4, first 2 shown]
	v_cmp_eq_u32_e32 vcc_lo, s9, v6
	v_cndmask_b32_e32 v4, v8, v4, vcc_lo
	v_sub_co_u32 v6, vcc_lo, v7, s8
	v_cmp_eq_u32_e32 vcc_lo, s9, v0
	v_cndmask_b32_e32 v0, v10, v9, vcc_lo
	s_delay_alu instid0(VALU_DEP_4) | instskip(NEXT) | instid1(VALU_DEP_4)
	v_cmp_ne_u32_e32 vcc_lo, 0, v4
	v_cndmask_b32_e32 v4, v7, v6, vcc_lo
	s_delay_alu instid0(VALU_DEP_3) | instskip(NEXT) | instid1(VALU_DEP_2)
	v_cmp_ne_u32_e32 vcc_lo, 0, v0
	v_cndmask_b32_e32 v5, v5, v4, vcc_lo
.LBB8_8:
	s_and_not1_saveexec_b32 s2, s3
	s_cbranch_execz .LBB8_10
; %bb.9:
	v_cvt_f32_u32_e32 v0, s8
	s_sub_i32 s3, 0, s8
	s_delay_alu instid0(VALU_DEP_1) | instskip(SKIP_2) | instid1(VALU_DEP_1)
	v_rcp_iflag_f32_e32 v0, v0
	s_waitcnt_depctr 0xfff
	v_mul_f32_e32 v0, 0x4f7ffffe, v0
	v_cvt_u32_f32_e32 v0, v0
	s_delay_alu instid0(VALU_DEP_1) | instskip(NEXT) | instid1(VALU_DEP_1)
	v_mul_lo_u32 v4, s3, v0
	v_mul_hi_u32 v4, v0, v4
	s_delay_alu instid0(VALU_DEP_1) | instskip(NEXT) | instid1(VALU_DEP_1)
	v_add_nc_u32_e32 v0, v0, v4
	v_mul_hi_u32 v0, v3, v0
	s_delay_alu instid0(VALU_DEP_1) | instskip(NEXT) | instid1(VALU_DEP_1)
	v_mul_lo_u32 v0, v0, s8
	v_sub_nc_u32_e32 v0, v3, v0
	s_delay_alu instid0(VALU_DEP_1) | instskip(SKIP_1) | instid1(VALU_DEP_2)
	v_subrev_nc_u32_e32 v4, s8, v0
	v_cmp_le_u32_e32 vcc_lo, s8, v0
	v_cndmask_b32_e32 v0, v0, v4, vcc_lo
	s_delay_alu instid0(VALU_DEP_1) | instskip(SKIP_1) | instid1(VALU_DEP_2)
	v_subrev_nc_u32_e32 v4, s8, v0
	v_cmp_le_u32_e32 vcc_lo, s8, v0
	v_cndmask_b32_e32 v5, v0, v4, vcc_lo
.LBB8_10:
	s_or_b32 exec_lo, exec_lo, s2
	v_mul_lo_u32 v0, v3, s16
	s_load_b32 s0, s[0:1], 0x30
	v_lshlrev_b64 v[6:7], 1, v[1:2]
	s_bfe_i64 s[2:3], s[12:13], 0x200000
	s_mul_i32 s1, s10, s8
	s_lshl_b64 s[2:3], s[2:3], 1
	s_mov_b64 s[8:9], 0
	s_delay_alu instid0(VALU_DEP_1) | instskip(SKIP_1) | instid1(VALU_DEP_1)
	v_add_co_u32 v2, vcc_lo, s18, v6
	v_sub_nc_u32_e32 v0, v1, v0
	v_cvt_f32_i32_e32 v0, v0
	s_delay_alu instid0(VALU_DEP_1) | instskip(SKIP_1) | instid1(VALU_DEP_1)
	v_add_f32_e32 v0, 0.5, v0
	s_waitcnt lgkmcnt(0)
	v_mul_f32_e32 v0, s0, v0
	s_add_i32 s0, s10, -1
	s_delay_alu instid0(VALU_DEP_1) | instskip(NEXT) | instid1(VALU_DEP_1)
	v_floor_f32_e32 v0, v0
	v_cvt_i32_f32_e32 v0, v0
	s_delay_alu instid0(VALU_DEP_1) | instskip(NEXT) | instid1(VALU_DEP_1)
	v_min_i32_e32 v3, s0, v0
	v_mad_u64_u32 v[0:1], null, v5, s10, v[3:4]
	v_add_co_ci_u32_e32 v3, vcc_lo, s19, v7, vcc_lo
	.p2align	6
.LBB8_11:                               ; =>This Inner Loop Header: Depth=1
	s_delay_alu instid0(VALU_DEP_2) | instskip(SKIP_2) | instid1(SALU_CYCLE_1)
	v_ashrrev_i32_e32 v1, 31, v0
	s_add_u32 s8, s8, 1
	s_addc_u32 s9, s9, 0
	v_cmp_lt_u64_e64 s0, s[8:9], s[6:7]
	s_delay_alu instid0(VALU_DEP_2) | instskip(SKIP_1) | instid1(VALU_DEP_2)
	v_lshlrev_b64 v[4:5], 1, v[0:1]
	v_add_nc_u32_e32 v0, s1, v0
	v_add_co_u32 v4, vcc_lo, s4, v4
	s_delay_alu instid0(VALU_DEP_3)
	v_add_co_ci_u32_e32 v5, vcc_lo, s5, v5, vcc_lo
	s_and_b32 vcc_lo, exec_lo, s0
	global_load_u16 v1, v[4:5], off
	s_waitcnt vmcnt(0)
	global_store_b16 v[2:3], v1, off
	v_add_co_u32 v2, s0, v2, s2
	s_delay_alu instid0(VALU_DEP_1)
	v_add_co_ci_u32_e64 v3, s0, s3, v3, s0
	s_cbranch_vccnz .LBB8_11
.LBB8_12:
	s_nop 0
	s_sendmsg sendmsg(MSG_DEALLOC_VGPRS)
	s_endpgm
	.section	.rodata,"a",@progbits
	.p2align	6, 0x0
	.amdhsa_kernel _ZN2at6native12_GLOBAL__N_128upsample_nearest1d_out_frameIN3c108BFloat16EXadL_ZNS0_43nearest_neighbor_exact_compute_source_indexEfiiEEEEvPKT_mmmmPS5_f
		.amdhsa_group_segment_fixed_size 0
		.amdhsa_private_segment_fixed_size 0
		.amdhsa_kernarg_size 312
		.amdhsa_user_sgpr_count 15
		.amdhsa_user_sgpr_dispatch_ptr 0
		.amdhsa_user_sgpr_queue_ptr 0
		.amdhsa_user_sgpr_kernarg_segment_ptr 1
		.amdhsa_user_sgpr_dispatch_id 0
		.amdhsa_user_sgpr_private_segment_size 0
		.amdhsa_wavefront_size32 1
		.amdhsa_uses_dynamic_stack 0
		.amdhsa_enable_private_segment 0
		.amdhsa_system_sgpr_workgroup_id_x 1
		.amdhsa_system_sgpr_workgroup_id_y 0
		.amdhsa_system_sgpr_workgroup_id_z 0
		.amdhsa_system_sgpr_workgroup_info 0
		.amdhsa_system_vgpr_workitem_id 0
		.amdhsa_next_free_vgpr 13
		.amdhsa_next_free_sgpr 20
		.amdhsa_reserve_vcc 1
		.amdhsa_float_round_mode_32 0
		.amdhsa_float_round_mode_16_64 0
		.amdhsa_float_denorm_mode_32 3
		.amdhsa_float_denorm_mode_16_64 3
		.amdhsa_dx10_clamp 1
		.amdhsa_ieee_mode 1
		.amdhsa_fp16_overflow 0
		.amdhsa_workgroup_processor_mode 1
		.amdhsa_memory_ordered 1
		.amdhsa_forward_progress 0
		.amdhsa_shared_vgpr_count 0
		.amdhsa_exception_fp_ieee_invalid_op 0
		.amdhsa_exception_fp_denorm_src 0
		.amdhsa_exception_fp_ieee_div_zero 0
		.amdhsa_exception_fp_ieee_overflow 0
		.amdhsa_exception_fp_ieee_underflow 0
		.amdhsa_exception_fp_ieee_inexact 0
		.amdhsa_exception_int_div_zero 0
	.end_amdhsa_kernel
	.section	.text._ZN2at6native12_GLOBAL__N_128upsample_nearest1d_out_frameIN3c108BFloat16EXadL_ZNS0_43nearest_neighbor_exact_compute_source_indexEfiiEEEEvPKT_mmmmPS5_f,"axG",@progbits,_ZN2at6native12_GLOBAL__N_128upsample_nearest1d_out_frameIN3c108BFloat16EXadL_ZNS0_43nearest_neighbor_exact_compute_source_indexEfiiEEEEvPKT_mmmmPS5_f,comdat
.Lfunc_end8:
	.size	_ZN2at6native12_GLOBAL__N_128upsample_nearest1d_out_frameIN3c108BFloat16EXadL_ZNS0_43nearest_neighbor_exact_compute_source_indexEfiiEEEEvPKT_mmmmPS5_f, .Lfunc_end8-_ZN2at6native12_GLOBAL__N_128upsample_nearest1d_out_frameIN3c108BFloat16EXadL_ZNS0_43nearest_neighbor_exact_compute_source_indexEfiiEEEEvPKT_mmmmPS5_f
                                        ; -- End function
	.section	.AMDGPU.csdata,"",@progbits
; Kernel info:
; codeLenInByte = 2116
; NumSgprs: 22
; NumVgprs: 13
; ScratchSize: 0
; MemoryBound: 0
; FloatMode: 240
; IeeeMode: 1
; LDSByteSize: 0 bytes/workgroup (compile time only)
; SGPRBlocks: 2
; VGPRBlocks: 1
; NumSGPRsForWavesPerEU: 22
; NumVGPRsForWavesPerEU: 13
; Occupancy: 16
; WaveLimiterHint : 0
; COMPUTE_PGM_RSRC2:SCRATCH_EN: 0
; COMPUTE_PGM_RSRC2:USER_SGPR: 15
; COMPUTE_PGM_RSRC2:TRAP_HANDLER: 0
; COMPUTE_PGM_RSRC2:TGID_X_EN: 1
; COMPUTE_PGM_RSRC2:TGID_Y_EN: 0
; COMPUTE_PGM_RSRC2:TGID_Z_EN: 0
; COMPUTE_PGM_RSRC2:TIDIG_COMP_CNT: 0
	.section	.text._ZN2at6native12_GLOBAL__N_128upsample_nearest1d_out_frameIhXadL_ZNS0_43nearest_neighbor_exact_compute_source_indexEfiiEEEEvPKT_mmmmPS3_f,"axG",@progbits,_ZN2at6native12_GLOBAL__N_128upsample_nearest1d_out_frameIhXadL_ZNS0_43nearest_neighbor_exact_compute_source_indexEfiiEEEEvPKT_mmmmPS3_f,comdat
	.globl	_ZN2at6native12_GLOBAL__N_128upsample_nearest1d_out_frameIhXadL_ZNS0_43nearest_neighbor_exact_compute_source_indexEfiiEEEEvPKT_mmmmPS3_f ; -- Begin function _ZN2at6native12_GLOBAL__N_128upsample_nearest1d_out_frameIhXadL_ZNS0_43nearest_neighbor_exact_compute_source_indexEfiiEEEEvPKT_mmmmPS3_f
	.p2align	8
	.type	_ZN2at6native12_GLOBAL__N_128upsample_nearest1d_out_frameIhXadL_ZNS0_43nearest_neighbor_exact_compute_source_indexEfiiEEEEvPKT_mmmmPS3_f,@function
_ZN2at6native12_GLOBAL__N_128upsample_nearest1d_out_frameIhXadL_ZNS0_43nearest_neighbor_exact_compute_source_indexEfiiEEEEvPKT_mmmmPS3_f: ; @_ZN2at6native12_GLOBAL__N_128upsample_nearest1d_out_frameIhXadL_ZNS0_43nearest_neighbor_exact_compute_source_indexEfiiEEEEvPKT_mmmmPS3_f
; %bb.0:
	s_clause 0x2
	s_load_b32 s2, s[0:1], 0x44
	s_load_b128 s[16:19], s[0:1], 0x20
	s_load_b256 s[4:11], s[0:1], 0x0
	s_waitcnt lgkmcnt(0)
	s_and_b32 s2, s2, 0xffff
	s_delay_alu instid0(SALU_CYCLE_1)
	v_mad_u64_u32 v[1:2], null, s15, s2, v[0:1]
	s_mul_i32 s2, s16, s9
	s_mul_hi_u32 s3, s16, s8
	s_mul_i32 s12, s16, s8
	s_add_i32 s2, s3, s2
	s_mul_i32 s3, s17, s8
	s_delay_alu instid0(SALU_CYCLE_1) | instskip(NEXT) | instid1(VALU_DEP_1)
	s_add_i32 s13, s2, s3
	v_ashrrev_i32_e32 v2, 31, v1
	s_mov_b32 s2, exec_lo
	s_delay_alu instid0(VALU_DEP_1)
	v_cmpx_gt_u64_e64 s[12:13], v[1:2]
	s_cbranch_execz .LBB9_12
; %bb.1:
	s_cmp_eq_u64 s[6:7], 0
	s_cbranch_scc1 .LBB9_12
; %bb.2:
	v_or_b32_e32 v4, s17, v2
	v_mov_b32_e32 v3, 0
	s_delay_alu instid0(VALU_DEP_1) | instskip(SKIP_1) | instid1(SALU_CYCLE_1)
	v_cmp_ne_u64_e32 vcc_lo, 0, v[3:4]
                                        ; implicit-def: $vgpr3_vgpr4
	s_and_saveexec_b32 s2, vcc_lo
	s_xor_b32 s3, exec_lo, s2
	s_cbranch_execz .LBB9_4
; %bb.3:
	v_cvt_f32_u32_e32 v0, s16
	v_cvt_f32_u32_e32 v3, s17
	s_sub_u32 s2, 0, s16
	s_subb_u32 s11, 0, s17
	s_delay_alu instid0(VALU_DEP_1) | instskip(NEXT) | instid1(VALU_DEP_1)
	v_fmamk_f32 v0, v3, 0x4f800000, v0
	v_rcp_f32_e32 v0, v0
	s_waitcnt_depctr 0xfff
	v_mul_f32_e32 v0, 0x5f7ffffc, v0
	s_delay_alu instid0(VALU_DEP_1) | instskip(NEXT) | instid1(VALU_DEP_1)
	v_mul_f32_e32 v3, 0x2f800000, v0
	v_trunc_f32_e32 v3, v3
	s_delay_alu instid0(VALU_DEP_1) | instskip(SKIP_1) | instid1(VALU_DEP_2)
	v_fmamk_f32 v0, v3, 0xcf800000, v0
	v_cvt_u32_f32_e32 v3, v3
	v_cvt_u32_f32_e32 v0, v0
	s_delay_alu instid0(VALU_DEP_2) | instskip(NEXT) | instid1(VALU_DEP_2)
	v_mul_lo_u32 v4, s2, v3
	v_mul_hi_u32 v5, s2, v0
	v_mul_lo_u32 v6, s11, v0
	s_delay_alu instid0(VALU_DEP_2) | instskip(SKIP_1) | instid1(VALU_DEP_2)
	v_add_nc_u32_e32 v4, v5, v4
	v_mul_lo_u32 v5, s2, v0
	v_add_nc_u32_e32 v4, v4, v6
	s_delay_alu instid0(VALU_DEP_2) | instskip(NEXT) | instid1(VALU_DEP_2)
	v_mul_hi_u32 v6, v0, v5
	v_mul_lo_u32 v7, v0, v4
	v_mul_hi_u32 v8, v0, v4
	v_mul_hi_u32 v9, v3, v5
	v_mul_lo_u32 v5, v3, v5
	v_mul_hi_u32 v10, v3, v4
	v_mul_lo_u32 v4, v3, v4
	v_add_co_u32 v6, vcc_lo, v6, v7
	v_add_co_ci_u32_e32 v7, vcc_lo, 0, v8, vcc_lo
	s_delay_alu instid0(VALU_DEP_2) | instskip(NEXT) | instid1(VALU_DEP_2)
	v_add_co_u32 v5, vcc_lo, v6, v5
	v_add_co_ci_u32_e32 v5, vcc_lo, v7, v9, vcc_lo
	v_add_co_ci_u32_e32 v6, vcc_lo, 0, v10, vcc_lo
	s_delay_alu instid0(VALU_DEP_2) | instskip(NEXT) | instid1(VALU_DEP_2)
	v_add_co_u32 v4, vcc_lo, v5, v4
	v_add_co_ci_u32_e32 v5, vcc_lo, 0, v6, vcc_lo
	s_delay_alu instid0(VALU_DEP_2) | instskip(NEXT) | instid1(VALU_DEP_2)
	v_add_co_u32 v0, vcc_lo, v0, v4
	v_add_co_ci_u32_e32 v3, vcc_lo, v3, v5, vcc_lo
	s_delay_alu instid0(VALU_DEP_2) | instskip(SKIP_1) | instid1(VALU_DEP_3)
	v_mul_hi_u32 v4, s2, v0
	v_mul_lo_u32 v6, s11, v0
	v_mul_lo_u32 v5, s2, v3
	s_delay_alu instid0(VALU_DEP_1) | instskip(SKIP_1) | instid1(VALU_DEP_2)
	v_add_nc_u32_e32 v4, v4, v5
	v_mul_lo_u32 v5, s2, v0
	v_add_nc_u32_e32 v4, v4, v6
	s_delay_alu instid0(VALU_DEP_2) | instskip(NEXT) | instid1(VALU_DEP_2)
	v_mul_hi_u32 v6, v0, v5
	v_mul_lo_u32 v7, v0, v4
	v_mul_hi_u32 v8, v0, v4
	v_mul_hi_u32 v9, v3, v5
	v_mul_lo_u32 v5, v3, v5
	v_mul_hi_u32 v10, v3, v4
	v_mul_lo_u32 v4, v3, v4
	v_add_co_u32 v6, vcc_lo, v6, v7
	v_add_co_ci_u32_e32 v7, vcc_lo, 0, v8, vcc_lo
	s_delay_alu instid0(VALU_DEP_2) | instskip(NEXT) | instid1(VALU_DEP_2)
	v_add_co_u32 v5, vcc_lo, v6, v5
	v_add_co_ci_u32_e32 v5, vcc_lo, v7, v9, vcc_lo
	v_add_co_ci_u32_e32 v6, vcc_lo, 0, v10, vcc_lo
	s_delay_alu instid0(VALU_DEP_2) | instskip(NEXT) | instid1(VALU_DEP_2)
	v_add_co_u32 v4, vcc_lo, v5, v4
	v_add_co_ci_u32_e32 v5, vcc_lo, 0, v6, vcc_lo
	s_delay_alu instid0(VALU_DEP_2) | instskip(NEXT) | instid1(VALU_DEP_2)
	v_add_co_u32 v0, vcc_lo, v0, v4
	v_add_co_ci_u32_e32 v9, vcc_lo, v3, v5, vcc_lo
	s_delay_alu instid0(VALU_DEP_2) | instskip(SKIP_1) | instid1(VALU_DEP_3)
	v_mul_hi_u32 v10, v1, v0
	v_mad_u64_u32 v[5:6], null, v2, v0, 0
	v_mad_u64_u32 v[3:4], null, v1, v9, 0
	;; [unrolled: 1-line block ×3, first 2 shown]
	s_delay_alu instid0(VALU_DEP_2) | instskip(NEXT) | instid1(VALU_DEP_3)
	v_add_co_u32 v0, vcc_lo, v10, v3
	v_add_co_ci_u32_e32 v3, vcc_lo, 0, v4, vcc_lo
	s_delay_alu instid0(VALU_DEP_2) | instskip(NEXT) | instid1(VALU_DEP_2)
	v_add_co_u32 v0, vcc_lo, v0, v5
	v_add_co_ci_u32_e32 v0, vcc_lo, v3, v6, vcc_lo
	v_add_co_ci_u32_e32 v3, vcc_lo, 0, v8, vcc_lo
	s_delay_alu instid0(VALU_DEP_2) | instskip(NEXT) | instid1(VALU_DEP_2)
	v_add_co_u32 v0, vcc_lo, v0, v7
	v_add_co_ci_u32_e32 v5, vcc_lo, 0, v3, vcc_lo
	s_delay_alu instid0(VALU_DEP_2) | instskip(SKIP_1) | instid1(VALU_DEP_3)
	v_mul_lo_u32 v6, s17, v0
	v_mad_u64_u32 v[3:4], null, s16, v0, 0
	v_mul_lo_u32 v7, s16, v5
	s_delay_alu instid0(VALU_DEP_2) | instskip(NEXT) | instid1(VALU_DEP_2)
	v_sub_co_u32 v3, vcc_lo, v1, v3
	v_add3_u32 v4, v4, v7, v6
	s_delay_alu instid0(VALU_DEP_1) | instskip(NEXT) | instid1(VALU_DEP_1)
	v_sub_nc_u32_e32 v6, v2, v4
	v_subrev_co_ci_u32_e64 v6, s2, s17, v6, vcc_lo
	v_add_co_u32 v7, s2, v0, 2
	s_delay_alu instid0(VALU_DEP_1) | instskip(SKIP_3) | instid1(VALU_DEP_3)
	v_add_co_ci_u32_e64 v8, s2, 0, v5, s2
	v_sub_co_u32 v9, s2, v3, s16
	v_sub_co_ci_u32_e32 v4, vcc_lo, v2, v4, vcc_lo
	v_subrev_co_ci_u32_e64 v6, s2, 0, v6, s2
	v_cmp_le_u32_e32 vcc_lo, s16, v9
	s_delay_alu instid0(VALU_DEP_3) | instskip(SKIP_1) | instid1(VALU_DEP_4)
	v_cmp_eq_u32_e64 s2, s17, v4
	v_cndmask_b32_e64 v9, 0, -1, vcc_lo
	v_cmp_le_u32_e32 vcc_lo, s17, v6
	v_cndmask_b32_e64 v10, 0, -1, vcc_lo
	v_cmp_le_u32_e32 vcc_lo, s16, v3
	;; [unrolled: 2-line block ×3, first 2 shown]
	v_cndmask_b32_e64 v11, 0, -1, vcc_lo
	v_cmp_eq_u32_e32 vcc_lo, s17, v6
	s_delay_alu instid0(VALU_DEP_2) | instskip(SKIP_3) | instid1(VALU_DEP_3)
	v_cndmask_b32_e64 v3, v11, v3, s2
	v_cndmask_b32_e32 v6, v10, v9, vcc_lo
	v_add_co_u32 v9, vcc_lo, v0, 1
	v_add_co_ci_u32_e32 v10, vcc_lo, 0, v5, vcc_lo
	v_cmp_ne_u32_e32 vcc_lo, 0, v6
	s_delay_alu instid0(VALU_DEP_2) | instskip(NEXT) | instid1(VALU_DEP_4)
	v_cndmask_b32_e32 v4, v10, v8, vcc_lo
	v_cndmask_b32_e32 v6, v9, v7, vcc_lo
	v_cmp_ne_u32_e32 vcc_lo, 0, v3
	s_delay_alu instid0(VALU_DEP_2)
	v_dual_cndmask_b32 v3, v0, v6 :: v_dual_cndmask_b32 v4, v5, v4
.LBB9_4:
	s_and_not1_saveexec_b32 s2, s3
	s_cbranch_execz .LBB9_6
; %bb.5:
	v_cvt_f32_u32_e32 v0, s16
	s_sub_i32 s3, 0, s16
	s_delay_alu instid0(VALU_DEP_1) | instskip(SKIP_2) | instid1(VALU_DEP_1)
	v_rcp_iflag_f32_e32 v0, v0
	s_waitcnt_depctr 0xfff
	v_mul_f32_e32 v0, 0x4f7ffffe, v0
	v_cvt_u32_f32_e32 v0, v0
	s_delay_alu instid0(VALU_DEP_1) | instskip(NEXT) | instid1(VALU_DEP_1)
	v_mul_lo_u32 v3, s3, v0
	v_mul_hi_u32 v3, v0, v3
	s_delay_alu instid0(VALU_DEP_1) | instskip(NEXT) | instid1(VALU_DEP_1)
	v_add_nc_u32_e32 v0, v0, v3
	v_mul_hi_u32 v0, v1, v0
	s_delay_alu instid0(VALU_DEP_1) | instskip(SKIP_1) | instid1(VALU_DEP_2)
	v_mul_lo_u32 v3, v0, s16
	v_add_nc_u32_e32 v4, 1, v0
	v_sub_nc_u32_e32 v3, v1, v3
	s_delay_alu instid0(VALU_DEP_1) | instskip(SKIP_1) | instid1(VALU_DEP_2)
	v_subrev_nc_u32_e32 v5, s16, v3
	v_cmp_le_u32_e32 vcc_lo, s16, v3
	v_dual_cndmask_b32 v3, v3, v5 :: v_dual_cndmask_b32 v0, v0, v4
	s_delay_alu instid0(VALU_DEP_1) | instskip(NEXT) | instid1(VALU_DEP_2)
	v_cmp_le_u32_e32 vcc_lo, s16, v3
	v_add_nc_u32_e32 v4, 1, v0
	s_delay_alu instid0(VALU_DEP_1)
	v_dual_cndmask_b32 v3, v0, v4 :: v_dual_mov_b32 v4, 0
.LBB9_6:
	s_or_b32 exec_lo, exec_lo, s2
	s_delay_alu instid0(VALU_DEP_1) | instskip(SKIP_1) | instid1(VALU_DEP_1)
	v_or_b32_e32 v6, s9, v4
	v_mov_b32_e32 v5, 0
	v_cmp_ne_u64_e32 vcc_lo, 0, v[5:6]
                                        ; implicit-def: $vgpr5_vgpr6
	s_and_saveexec_b32 s2, vcc_lo
	s_delay_alu instid0(SALU_CYCLE_1)
	s_xor_b32 s3, exec_lo, s2
	s_cbranch_execz .LBB9_8
; %bb.7:
	v_cvt_f32_u32_e32 v0, s8
	v_cvt_f32_u32_e32 v5, s9
	s_sub_u32 s2, 0, s8
	s_subb_u32 s11, 0, s9
	s_delay_alu instid0(VALU_DEP_1) | instskip(NEXT) | instid1(VALU_DEP_1)
	v_fmamk_f32 v0, v5, 0x4f800000, v0
	v_rcp_f32_e32 v0, v0
	s_waitcnt_depctr 0xfff
	v_mul_f32_e32 v0, 0x5f7ffffc, v0
	s_delay_alu instid0(VALU_DEP_1) | instskip(NEXT) | instid1(VALU_DEP_1)
	v_mul_f32_e32 v5, 0x2f800000, v0
	v_trunc_f32_e32 v5, v5
	s_delay_alu instid0(VALU_DEP_1) | instskip(SKIP_1) | instid1(VALU_DEP_2)
	v_fmamk_f32 v0, v5, 0xcf800000, v0
	v_cvt_u32_f32_e32 v5, v5
	v_cvt_u32_f32_e32 v0, v0
	s_delay_alu instid0(VALU_DEP_2) | instskip(NEXT) | instid1(VALU_DEP_2)
	v_mul_lo_u32 v6, s2, v5
	v_mul_hi_u32 v7, s2, v0
	v_mul_lo_u32 v8, s11, v0
	s_delay_alu instid0(VALU_DEP_2) | instskip(SKIP_1) | instid1(VALU_DEP_2)
	v_add_nc_u32_e32 v6, v7, v6
	v_mul_lo_u32 v7, s2, v0
	v_add_nc_u32_e32 v6, v6, v8
	s_delay_alu instid0(VALU_DEP_2) | instskip(NEXT) | instid1(VALU_DEP_2)
	v_mul_hi_u32 v8, v0, v7
	v_mul_lo_u32 v9, v0, v6
	v_mul_hi_u32 v10, v0, v6
	v_mul_hi_u32 v11, v5, v7
	v_mul_lo_u32 v7, v5, v7
	v_mul_hi_u32 v12, v5, v6
	v_mul_lo_u32 v6, v5, v6
	v_add_co_u32 v8, vcc_lo, v8, v9
	v_add_co_ci_u32_e32 v9, vcc_lo, 0, v10, vcc_lo
	s_delay_alu instid0(VALU_DEP_2) | instskip(NEXT) | instid1(VALU_DEP_2)
	v_add_co_u32 v7, vcc_lo, v8, v7
	v_add_co_ci_u32_e32 v7, vcc_lo, v9, v11, vcc_lo
	v_add_co_ci_u32_e32 v8, vcc_lo, 0, v12, vcc_lo
	s_delay_alu instid0(VALU_DEP_2) | instskip(NEXT) | instid1(VALU_DEP_2)
	v_add_co_u32 v6, vcc_lo, v7, v6
	v_add_co_ci_u32_e32 v7, vcc_lo, 0, v8, vcc_lo
	s_delay_alu instid0(VALU_DEP_2) | instskip(NEXT) | instid1(VALU_DEP_2)
	v_add_co_u32 v0, vcc_lo, v0, v6
	v_add_co_ci_u32_e32 v5, vcc_lo, v5, v7, vcc_lo
	s_delay_alu instid0(VALU_DEP_2) | instskip(SKIP_1) | instid1(VALU_DEP_3)
	v_mul_hi_u32 v6, s2, v0
	v_mul_lo_u32 v8, s11, v0
	v_mul_lo_u32 v7, s2, v5
	s_delay_alu instid0(VALU_DEP_1) | instskip(SKIP_1) | instid1(VALU_DEP_2)
	v_add_nc_u32_e32 v6, v6, v7
	v_mul_lo_u32 v7, s2, v0
	v_add_nc_u32_e32 v6, v6, v8
	s_delay_alu instid0(VALU_DEP_2) | instskip(NEXT) | instid1(VALU_DEP_2)
	v_mul_hi_u32 v8, v0, v7
	v_mul_lo_u32 v9, v0, v6
	v_mul_hi_u32 v10, v0, v6
	v_mul_hi_u32 v11, v5, v7
	v_mul_lo_u32 v7, v5, v7
	v_mul_hi_u32 v12, v5, v6
	v_mul_lo_u32 v6, v5, v6
	v_add_co_u32 v8, vcc_lo, v8, v9
	v_add_co_ci_u32_e32 v9, vcc_lo, 0, v10, vcc_lo
	s_delay_alu instid0(VALU_DEP_2) | instskip(NEXT) | instid1(VALU_DEP_2)
	v_add_co_u32 v7, vcc_lo, v8, v7
	v_add_co_ci_u32_e32 v7, vcc_lo, v9, v11, vcc_lo
	v_add_co_ci_u32_e32 v8, vcc_lo, 0, v12, vcc_lo
	s_delay_alu instid0(VALU_DEP_2) | instskip(NEXT) | instid1(VALU_DEP_2)
	v_add_co_u32 v6, vcc_lo, v7, v6
	v_add_co_ci_u32_e32 v7, vcc_lo, 0, v8, vcc_lo
	s_delay_alu instid0(VALU_DEP_2) | instskip(NEXT) | instid1(VALU_DEP_2)
	v_add_co_u32 v0, vcc_lo, v0, v6
	v_add_co_ci_u32_e32 v11, vcc_lo, v5, v7, vcc_lo
	s_delay_alu instid0(VALU_DEP_2) | instskip(SKIP_1) | instid1(VALU_DEP_3)
	v_mul_hi_u32 v12, v3, v0
	v_mad_u64_u32 v[7:8], null, v4, v0, 0
	v_mad_u64_u32 v[5:6], null, v3, v11, 0
	;; [unrolled: 1-line block ×3, first 2 shown]
	s_delay_alu instid0(VALU_DEP_2) | instskip(NEXT) | instid1(VALU_DEP_3)
	v_add_co_u32 v0, vcc_lo, v12, v5
	v_add_co_ci_u32_e32 v5, vcc_lo, 0, v6, vcc_lo
	s_delay_alu instid0(VALU_DEP_2) | instskip(NEXT) | instid1(VALU_DEP_2)
	v_add_co_u32 v0, vcc_lo, v0, v7
	v_add_co_ci_u32_e32 v0, vcc_lo, v5, v8, vcc_lo
	v_add_co_ci_u32_e32 v5, vcc_lo, 0, v10, vcc_lo
	s_delay_alu instid0(VALU_DEP_2) | instskip(NEXT) | instid1(VALU_DEP_2)
	v_add_co_u32 v0, vcc_lo, v0, v9
	v_add_co_ci_u32_e32 v7, vcc_lo, 0, v5, vcc_lo
	s_delay_alu instid0(VALU_DEP_2) | instskip(SKIP_1) | instid1(VALU_DEP_3)
	v_mul_lo_u32 v8, s9, v0
	v_mad_u64_u32 v[5:6], null, s8, v0, 0
	v_mul_lo_u32 v0, s8, v7
	s_delay_alu instid0(VALU_DEP_2) | instskip(NEXT) | instid1(VALU_DEP_2)
	v_sub_co_u32 v5, vcc_lo, v3, v5
	v_add3_u32 v0, v6, v0, v8
	s_delay_alu instid0(VALU_DEP_1) | instskip(NEXT) | instid1(VALU_DEP_1)
	v_sub_nc_u32_e32 v6, v4, v0
	v_subrev_co_ci_u32_e64 v6, s2, s9, v6, vcc_lo
	s_delay_alu instid0(VALU_DEP_4) | instskip(SKIP_1) | instid1(VALU_DEP_3)
	v_sub_co_u32 v7, s2, v5, s8
	v_sub_co_ci_u32_e32 v0, vcc_lo, v4, v0, vcc_lo
	v_subrev_co_ci_u32_e64 v6, s2, 0, v6, s2
	s_delay_alu instid0(VALU_DEP_3) | instskip(SKIP_1) | instid1(VALU_DEP_3)
	v_cmp_le_u32_e32 vcc_lo, s8, v7
	v_cndmask_b32_e64 v4, 0, -1, vcc_lo
	v_cmp_le_u32_e32 vcc_lo, s9, v6
	v_cndmask_b32_e64 v8, 0, -1, vcc_lo
	;; [unrolled: 2-line block ×4, first 2 shown]
	v_cmp_eq_u32_e32 vcc_lo, s9, v6
	v_cndmask_b32_e32 v4, v8, v4, vcc_lo
	v_sub_co_u32 v6, vcc_lo, v7, s8
	v_cmp_eq_u32_e32 vcc_lo, s9, v0
	v_cndmask_b32_e32 v0, v10, v9, vcc_lo
	s_delay_alu instid0(VALU_DEP_4) | instskip(NEXT) | instid1(VALU_DEP_4)
	v_cmp_ne_u32_e32 vcc_lo, 0, v4
	v_cndmask_b32_e32 v4, v7, v6, vcc_lo
	s_delay_alu instid0(VALU_DEP_3) | instskip(NEXT) | instid1(VALU_DEP_2)
	v_cmp_ne_u32_e32 vcc_lo, 0, v0
	v_cndmask_b32_e32 v5, v5, v4, vcc_lo
.LBB9_8:
	s_and_not1_saveexec_b32 s2, s3
	s_cbranch_execz .LBB9_10
; %bb.9:
	v_cvt_f32_u32_e32 v0, s8
	s_sub_i32 s3, 0, s8
	s_delay_alu instid0(VALU_DEP_1) | instskip(SKIP_2) | instid1(VALU_DEP_1)
	v_rcp_iflag_f32_e32 v0, v0
	s_waitcnt_depctr 0xfff
	v_mul_f32_e32 v0, 0x4f7ffffe, v0
	v_cvt_u32_f32_e32 v0, v0
	s_delay_alu instid0(VALU_DEP_1) | instskip(NEXT) | instid1(VALU_DEP_1)
	v_mul_lo_u32 v4, s3, v0
	v_mul_hi_u32 v4, v0, v4
	s_delay_alu instid0(VALU_DEP_1) | instskip(NEXT) | instid1(VALU_DEP_1)
	v_add_nc_u32_e32 v0, v0, v4
	v_mul_hi_u32 v0, v3, v0
	s_delay_alu instid0(VALU_DEP_1) | instskip(NEXT) | instid1(VALU_DEP_1)
	v_mul_lo_u32 v0, v0, s8
	v_sub_nc_u32_e32 v0, v3, v0
	s_delay_alu instid0(VALU_DEP_1) | instskip(SKIP_1) | instid1(VALU_DEP_2)
	v_subrev_nc_u32_e32 v4, s8, v0
	v_cmp_le_u32_e32 vcc_lo, s8, v0
	v_cndmask_b32_e32 v0, v0, v4, vcc_lo
	s_delay_alu instid0(VALU_DEP_1) | instskip(SKIP_1) | instid1(VALU_DEP_2)
	v_subrev_nc_u32_e32 v4, s8, v0
	v_cmp_le_u32_e32 vcc_lo, s8, v0
	v_cndmask_b32_e32 v5, v0, v4, vcc_lo
.LBB9_10:
	s_or_b32 exec_lo, exec_lo, s2
	v_mul_lo_u32 v0, v3, s16
	s_load_b32 s0, s[0:1], 0x30
	s_mul_i32 s1, s10, s8
	s_bfe_i64 s[2:3], s[12:13], 0x200000
	s_mov_b64 s[8:9], 0
	s_delay_alu instid0(VALU_DEP_1) | instskip(NEXT) | instid1(VALU_DEP_1)
	v_sub_nc_u32_e32 v0, v1, v0
	v_cvt_f32_i32_e32 v0, v0
	s_delay_alu instid0(VALU_DEP_1) | instskip(SKIP_1) | instid1(VALU_DEP_1)
	v_add_f32_e32 v0, 0.5, v0
	s_waitcnt lgkmcnt(0)
	v_mul_f32_e32 v0, s0, v0
	s_add_i32 s0, s10, -1
	s_delay_alu instid0(VALU_DEP_1) | instskip(NEXT) | instid1(VALU_DEP_1)
	v_floor_f32_e32 v0, v0
	v_cvt_i32_f32_e32 v0, v0
	s_delay_alu instid0(VALU_DEP_1) | instskip(NEXT) | instid1(VALU_DEP_1)
	v_min_i32_e32 v0, s0, v0
	v_mad_u64_u32 v[3:4], null, v5, s10, v[0:1]
	v_add_co_u32 v0, vcc_lo, s18, v1
	v_add_co_ci_u32_e32 v1, vcc_lo, s19, v2, vcc_lo
	.p2align	6
.LBB9_11:                               ; =>This Inner Loop Header: Depth=1
	s_delay_alu instid0(VALU_DEP_3) | instskip(SKIP_3) | instid1(VALU_DEP_2)
	v_ashrrev_i32_e32 v2, 31, v3
	v_add_co_u32 v4, vcc_lo, s4, v3
	s_add_u32 s8, s8, 1
	s_addc_u32 s9, s9, 0
	v_add_co_ci_u32_e32 v5, vcc_lo, s5, v2, vcc_lo
	v_cmp_lt_u64_e64 s0, s[8:9], s[6:7]
	v_add_nc_u32_e32 v3, s1, v3
	global_load_u8 v2, v[4:5], off
	s_and_b32 vcc_lo, exec_lo, s0
	s_waitcnt vmcnt(0)
	global_store_b8 v[0:1], v2, off
	v_add_co_u32 v0, s0, v0, s2
	s_delay_alu instid0(VALU_DEP_1)
	v_add_co_ci_u32_e64 v1, s0, s3, v1, s0
	s_cbranch_vccnz .LBB9_11
.LBB9_12:
	s_nop 0
	s_sendmsg sendmsg(MSG_DEALLOC_VGPRS)
	s_endpgm
	.section	.rodata,"a",@progbits
	.p2align	6, 0x0
	.amdhsa_kernel _ZN2at6native12_GLOBAL__N_128upsample_nearest1d_out_frameIhXadL_ZNS0_43nearest_neighbor_exact_compute_source_indexEfiiEEEEvPKT_mmmmPS3_f
		.amdhsa_group_segment_fixed_size 0
		.amdhsa_private_segment_fixed_size 0
		.amdhsa_kernarg_size 312
		.amdhsa_user_sgpr_count 15
		.amdhsa_user_sgpr_dispatch_ptr 0
		.amdhsa_user_sgpr_queue_ptr 0
		.amdhsa_user_sgpr_kernarg_segment_ptr 1
		.amdhsa_user_sgpr_dispatch_id 0
		.amdhsa_user_sgpr_private_segment_size 0
		.amdhsa_wavefront_size32 1
		.amdhsa_uses_dynamic_stack 0
		.amdhsa_enable_private_segment 0
		.amdhsa_system_sgpr_workgroup_id_x 1
		.amdhsa_system_sgpr_workgroup_id_y 0
		.amdhsa_system_sgpr_workgroup_id_z 0
		.amdhsa_system_sgpr_workgroup_info 0
		.amdhsa_system_vgpr_workitem_id 0
		.amdhsa_next_free_vgpr 13
		.amdhsa_next_free_sgpr 20
		.amdhsa_reserve_vcc 1
		.amdhsa_float_round_mode_32 0
		.amdhsa_float_round_mode_16_64 0
		.amdhsa_float_denorm_mode_32 3
		.amdhsa_float_denorm_mode_16_64 3
		.amdhsa_dx10_clamp 1
		.amdhsa_ieee_mode 1
		.amdhsa_fp16_overflow 0
		.amdhsa_workgroup_processor_mode 1
		.amdhsa_memory_ordered 1
		.amdhsa_forward_progress 0
		.amdhsa_shared_vgpr_count 0
		.amdhsa_exception_fp_ieee_invalid_op 0
		.amdhsa_exception_fp_denorm_src 0
		.amdhsa_exception_fp_ieee_div_zero 0
		.amdhsa_exception_fp_ieee_overflow 0
		.amdhsa_exception_fp_ieee_underflow 0
		.amdhsa_exception_fp_ieee_inexact 0
		.amdhsa_exception_int_div_zero 0
	.end_amdhsa_kernel
	.section	.text._ZN2at6native12_GLOBAL__N_128upsample_nearest1d_out_frameIhXadL_ZNS0_43nearest_neighbor_exact_compute_source_indexEfiiEEEEvPKT_mmmmPS3_f,"axG",@progbits,_ZN2at6native12_GLOBAL__N_128upsample_nearest1d_out_frameIhXadL_ZNS0_43nearest_neighbor_exact_compute_source_indexEfiiEEEEvPKT_mmmmPS3_f,comdat
.Lfunc_end9:
	.size	_ZN2at6native12_GLOBAL__N_128upsample_nearest1d_out_frameIhXadL_ZNS0_43nearest_neighbor_exact_compute_source_indexEfiiEEEEvPKT_mmmmPS3_f, .Lfunc_end9-_ZN2at6native12_GLOBAL__N_128upsample_nearest1d_out_frameIhXadL_ZNS0_43nearest_neighbor_exact_compute_source_indexEfiiEEEEvPKT_mmmmPS3_f
                                        ; -- End function
	.section	.AMDGPU.csdata,"",@progbits
; Kernel info:
; codeLenInByte = 2088
; NumSgprs: 22
; NumVgprs: 13
; ScratchSize: 0
; MemoryBound: 0
; FloatMode: 240
; IeeeMode: 1
; LDSByteSize: 0 bytes/workgroup (compile time only)
; SGPRBlocks: 2
; VGPRBlocks: 1
; NumSGPRsForWavesPerEU: 22
; NumVGPRsForWavesPerEU: 13
; Occupancy: 16
; WaveLimiterHint : 0
; COMPUTE_PGM_RSRC2:SCRATCH_EN: 0
; COMPUTE_PGM_RSRC2:USER_SGPR: 15
; COMPUTE_PGM_RSRC2:TRAP_HANDLER: 0
; COMPUTE_PGM_RSRC2:TGID_X_EN: 1
; COMPUTE_PGM_RSRC2:TGID_Y_EN: 0
; COMPUTE_PGM_RSRC2:TGID_Z_EN: 0
; COMPUTE_PGM_RSRC2:TIDIG_COMP_CNT: 0
	.section	.text._ZN2at6native12_GLOBAL__N_137upsample_nearest1d_backward_out_frameIddXadL_ZNS0_40nearest_neighbor_bw_compute_source_indexEfiiEEEEvPKT_mmmmPS3_f,"axG",@progbits,_ZN2at6native12_GLOBAL__N_137upsample_nearest1d_backward_out_frameIddXadL_ZNS0_40nearest_neighbor_bw_compute_source_indexEfiiEEEEvPKT_mmmmPS3_f,comdat
	.globl	_ZN2at6native12_GLOBAL__N_137upsample_nearest1d_backward_out_frameIddXadL_ZNS0_40nearest_neighbor_bw_compute_source_indexEfiiEEEEvPKT_mmmmPS3_f ; -- Begin function _ZN2at6native12_GLOBAL__N_137upsample_nearest1d_backward_out_frameIddXadL_ZNS0_40nearest_neighbor_bw_compute_source_indexEfiiEEEEvPKT_mmmmPS3_f
	.p2align	8
	.type	_ZN2at6native12_GLOBAL__N_137upsample_nearest1d_backward_out_frameIddXadL_ZNS0_40nearest_neighbor_bw_compute_source_indexEfiiEEEEvPKT_mmmmPS3_f,@function
_ZN2at6native12_GLOBAL__N_137upsample_nearest1d_backward_out_frameIddXadL_ZNS0_40nearest_neighbor_bw_compute_source_indexEfiiEEEEvPKT_mmmmPS3_f: ; @_ZN2at6native12_GLOBAL__N_137upsample_nearest1d_backward_out_frameIddXadL_ZNS0_40nearest_neighbor_bw_compute_source_indexEfiiEEEEvPKT_mmmmPS3_f
; %bb.0:
	s_clause 0x2
	s_load_b32 s2, s[0:1], 0x44
	s_load_b128 s[16:19], s[0:1], 0x20
	s_load_b256 s[4:11], s[0:1], 0x0
	s_waitcnt lgkmcnt(0)
	s_and_b32 s2, s2, 0xffff
	s_delay_alu instid0(SALU_CYCLE_1)
	v_mad_u64_u32 v[1:2], null, s15, s2, v[0:1]
	s_mul_i32 s2, s16, s9
	s_mul_hi_u32 s3, s16, s8
	s_mul_i32 s12, s16, s8
	s_add_i32 s2, s3, s2
	s_mul_i32 s3, s17, s8
	s_delay_alu instid0(SALU_CYCLE_1) | instskip(NEXT) | instid1(VALU_DEP_1)
	s_add_i32 s13, s2, s3
	v_ashrrev_i32_e32 v2, 31, v1
	s_mov_b32 s2, exec_lo
	s_delay_alu instid0(VALU_DEP_1)
	v_cmpx_gt_u64_e64 s[12:13], v[1:2]
	s_cbranch_execz .LBB10_16
; %bb.1:
	v_or_b32_e32 v4, s17, v2
	v_mov_b32_e32 v3, 0
	s_delay_alu instid0(VALU_DEP_1) | instskip(SKIP_1) | instid1(SALU_CYCLE_1)
	v_cmp_ne_u64_e32 vcc_lo, 0, v[3:4]
                                        ; implicit-def: $vgpr3_vgpr4
	s_and_saveexec_b32 s2, vcc_lo
	s_xor_b32 s3, exec_lo, s2
	s_cbranch_execz .LBB10_3
; %bb.2:
	v_cvt_f32_u32_e32 v0, s16
	v_cvt_f32_u32_e32 v3, s17
	s_sub_u32 s2, 0, s16
	s_subb_u32 s11, 0, s17
	s_delay_alu instid0(VALU_DEP_1) | instskip(NEXT) | instid1(VALU_DEP_1)
	v_fmamk_f32 v0, v3, 0x4f800000, v0
	v_rcp_f32_e32 v0, v0
	s_waitcnt_depctr 0xfff
	v_mul_f32_e32 v0, 0x5f7ffffc, v0
	s_delay_alu instid0(VALU_DEP_1) | instskip(NEXT) | instid1(VALU_DEP_1)
	v_mul_f32_e32 v3, 0x2f800000, v0
	v_trunc_f32_e32 v3, v3
	s_delay_alu instid0(VALU_DEP_1) | instskip(SKIP_1) | instid1(VALU_DEP_2)
	v_fmamk_f32 v0, v3, 0xcf800000, v0
	v_cvt_u32_f32_e32 v3, v3
	v_cvt_u32_f32_e32 v0, v0
	s_delay_alu instid0(VALU_DEP_2) | instskip(NEXT) | instid1(VALU_DEP_2)
	v_mul_lo_u32 v4, s2, v3
	v_mul_hi_u32 v5, s2, v0
	v_mul_lo_u32 v6, s11, v0
	s_delay_alu instid0(VALU_DEP_2) | instskip(SKIP_1) | instid1(VALU_DEP_2)
	v_add_nc_u32_e32 v4, v5, v4
	v_mul_lo_u32 v5, s2, v0
	v_add_nc_u32_e32 v4, v4, v6
	s_delay_alu instid0(VALU_DEP_2) | instskip(NEXT) | instid1(VALU_DEP_2)
	v_mul_hi_u32 v6, v0, v5
	v_mul_lo_u32 v7, v0, v4
	v_mul_hi_u32 v8, v0, v4
	v_mul_hi_u32 v9, v3, v5
	v_mul_lo_u32 v5, v3, v5
	v_mul_hi_u32 v10, v3, v4
	v_mul_lo_u32 v4, v3, v4
	v_add_co_u32 v6, vcc_lo, v6, v7
	v_add_co_ci_u32_e32 v7, vcc_lo, 0, v8, vcc_lo
	s_delay_alu instid0(VALU_DEP_2) | instskip(NEXT) | instid1(VALU_DEP_2)
	v_add_co_u32 v5, vcc_lo, v6, v5
	v_add_co_ci_u32_e32 v5, vcc_lo, v7, v9, vcc_lo
	v_add_co_ci_u32_e32 v6, vcc_lo, 0, v10, vcc_lo
	s_delay_alu instid0(VALU_DEP_2) | instskip(NEXT) | instid1(VALU_DEP_2)
	v_add_co_u32 v4, vcc_lo, v5, v4
	v_add_co_ci_u32_e32 v5, vcc_lo, 0, v6, vcc_lo
	s_delay_alu instid0(VALU_DEP_2) | instskip(NEXT) | instid1(VALU_DEP_2)
	v_add_co_u32 v0, vcc_lo, v0, v4
	v_add_co_ci_u32_e32 v3, vcc_lo, v3, v5, vcc_lo
	s_delay_alu instid0(VALU_DEP_2) | instskip(SKIP_1) | instid1(VALU_DEP_3)
	v_mul_hi_u32 v4, s2, v0
	v_mul_lo_u32 v6, s11, v0
	v_mul_lo_u32 v5, s2, v3
	s_delay_alu instid0(VALU_DEP_1) | instskip(SKIP_1) | instid1(VALU_DEP_2)
	v_add_nc_u32_e32 v4, v4, v5
	v_mul_lo_u32 v5, s2, v0
	v_add_nc_u32_e32 v4, v4, v6
	s_delay_alu instid0(VALU_DEP_2) | instskip(NEXT) | instid1(VALU_DEP_2)
	v_mul_hi_u32 v6, v0, v5
	v_mul_lo_u32 v7, v0, v4
	v_mul_hi_u32 v8, v0, v4
	v_mul_hi_u32 v9, v3, v5
	v_mul_lo_u32 v5, v3, v5
	v_mul_hi_u32 v10, v3, v4
	v_mul_lo_u32 v4, v3, v4
	v_add_co_u32 v6, vcc_lo, v6, v7
	v_add_co_ci_u32_e32 v7, vcc_lo, 0, v8, vcc_lo
	s_delay_alu instid0(VALU_DEP_2) | instskip(NEXT) | instid1(VALU_DEP_2)
	v_add_co_u32 v5, vcc_lo, v6, v5
	v_add_co_ci_u32_e32 v5, vcc_lo, v7, v9, vcc_lo
	v_add_co_ci_u32_e32 v6, vcc_lo, 0, v10, vcc_lo
	s_delay_alu instid0(VALU_DEP_2) | instskip(NEXT) | instid1(VALU_DEP_2)
	v_add_co_u32 v4, vcc_lo, v5, v4
	v_add_co_ci_u32_e32 v5, vcc_lo, 0, v6, vcc_lo
	s_delay_alu instid0(VALU_DEP_2) | instskip(NEXT) | instid1(VALU_DEP_2)
	v_add_co_u32 v0, vcc_lo, v0, v4
	v_add_co_ci_u32_e32 v9, vcc_lo, v3, v5, vcc_lo
	s_delay_alu instid0(VALU_DEP_2) | instskip(SKIP_1) | instid1(VALU_DEP_3)
	v_mul_hi_u32 v10, v1, v0
	v_mad_u64_u32 v[5:6], null, v2, v0, 0
	v_mad_u64_u32 v[3:4], null, v1, v9, 0
	;; [unrolled: 1-line block ×3, first 2 shown]
	s_delay_alu instid0(VALU_DEP_2) | instskip(NEXT) | instid1(VALU_DEP_3)
	v_add_co_u32 v0, vcc_lo, v10, v3
	v_add_co_ci_u32_e32 v3, vcc_lo, 0, v4, vcc_lo
	s_delay_alu instid0(VALU_DEP_2) | instskip(NEXT) | instid1(VALU_DEP_2)
	v_add_co_u32 v0, vcc_lo, v0, v5
	v_add_co_ci_u32_e32 v0, vcc_lo, v3, v6, vcc_lo
	v_add_co_ci_u32_e32 v3, vcc_lo, 0, v8, vcc_lo
	s_delay_alu instid0(VALU_DEP_2) | instskip(NEXT) | instid1(VALU_DEP_2)
	v_add_co_u32 v0, vcc_lo, v0, v7
	v_add_co_ci_u32_e32 v5, vcc_lo, 0, v3, vcc_lo
	s_delay_alu instid0(VALU_DEP_2) | instskip(SKIP_1) | instid1(VALU_DEP_3)
	v_mul_lo_u32 v6, s17, v0
	v_mad_u64_u32 v[3:4], null, s16, v0, 0
	v_mul_lo_u32 v7, s16, v5
	s_delay_alu instid0(VALU_DEP_2) | instskip(NEXT) | instid1(VALU_DEP_2)
	v_sub_co_u32 v3, vcc_lo, v1, v3
	v_add3_u32 v4, v4, v7, v6
	s_delay_alu instid0(VALU_DEP_1) | instskip(NEXT) | instid1(VALU_DEP_1)
	v_sub_nc_u32_e32 v6, v2, v4
	v_subrev_co_ci_u32_e64 v6, s2, s17, v6, vcc_lo
	v_add_co_u32 v7, s2, v0, 2
	s_delay_alu instid0(VALU_DEP_1) | instskip(SKIP_3) | instid1(VALU_DEP_3)
	v_add_co_ci_u32_e64 v8, s2, 0, v5, s2
	v_sub_co_u32 v9, s2, v3, s16
	v_sub_co_ci_u32_e32 v2, vcc_lo, v2, v4, vcc_lo
	v_subrev_co_ci_u32_e64 v6, s2, 0, v6, s2
	v_cmp_le_u32_e32 vcc_lo, s16, v9
	s_delay_alu instid0(VALU_DEP_3) | instskip(SKIP_1) | instid1(VALU_DEP_4)
	v_cmp_eq_u32_e64 s2, s17, v2
	v_cndmask_b32_e64 v4, 0, -1, vcc_lo
	v_cmp_le_u32_e32 vcc_lo, s17, v6
	v_cndmask_b32_e64 v9, 0, -1, vcc_lo
	v_cmp_le_u32_e32 vcc_lo, s16, v3
	;; [unrolled: 2-line block ×3, first 2 shown]
	v_cndmask_b32_e64 v10, 0, -1, vcc_lo
	v_cmp_eq_u32_e32 vcc_lo, s17, v6
	s_delay_alu instid0(VALU_DEP_2) | instskip(SKIP_3) | instid1(VALU_DEP_3)
	v_cndmask_b32_e64 v2, v10, v3, s2
	v_cndmask_b32_e32 v4, v9, v4, vcc_lo
	v_add_co_u32 v6, vcc_lo, v0, 1
	v_add_co_ci_u32_e32 v9, vcc_lo, 0, v5, vcc_lo
	v_cmp_ne_u32_e32 vcc_lo, 0, v4
	s_delay_alu instid0(VALU_DEP_2) | instskip(SKIP_1) | instid1(VALU_DEP_2)
	v_dual_cndmask_b32 v3, v9, v8 :: v_dual_cndmask_b32 v6, v6, v7
	v_cmp_ne_u32_e32 vcc_lo, 0, v2
	v_dual_cndmask_b32 v4, v5, v3 :: v_dual_cndmask_b32 v3, v0, v6
.LBB10_3:
	s_and_not1_saveexec_b32 s2, s3
	s_cbranch_execz .LBB10_5
; %bb.4:
	v_cvt_f32_u32_e32 v0, s16
	s_sub_i32 s3, 0, s16
	s_delay_alu instid0(VALU_DEP_1) | instskip(SKIP_2) | instid1(VALU_DEP_1)
	v_rcp_iflag_f32_e32 v0, v0
	s_waitcnt_depctr 0xfff
	v_mul_f32_e32 v0, 0x4f7ffffe, v0
	v_cvt_u32_f32_e32 v0, v0
	s_delay_alu instid0(VALU_DEP_1) | instskip(NEXT) | instid1(VALU_DEP_1)
	v_mul_lo_u32 v2, s3, v0
	v_mul_hi_u32 v2, v0, v2
	s_delay_alu instid0(VALU_DEP_1) | instskip(NEXT) | instid1(VALU_DEP_1)
	v_add_nc_u32_e32 v0, v0, v2
	v_mul_hi_u32 v0, v1, v0
	s_delay_alu instid0(VALU_DEP_1) | instskip(SKIP_1) | instid1(VALU_DEP_2)
	v_mul_lo_u32 v2, v0, s16
	v_add_nc_u32_e32 v3, 1, v0
	v_sub_nc_u32_e32 v2, v1, v2
	s_delay_alu instid0(VALU_DEP_1) | instskip(SKIP_1) | instid1(VALU_DEP_2)
	v_subrev_nc_u32_e32 v4, s16, v2
	v_cmp_le_u32_e32 vcc_lo, s16, v2
	v_cndmask_b32_e32 v2, v2, v4, vcc_lo
	v_mov_b32_e32 v4, 0
	v_cndmask_b32_e32 v0, v0, v3, vcc_lo
	s_delay_alu instid0(VALU_DEP_3) | instskip(NEXT) | instid1(VALU_DEP_2)
	v_cmp_le_u32_e32 vcc_lo, s16, v2
	v_add_nc_u32_e32 v3, 1, v0
	s_delay_alu instid0(VALU_DEP_1)
	v_cndmask_b32_e32 v3, v0, v3, vcc_lo
.LBB10_5:
	s_or_b32 exec_lo, exec_lo, s2
	s_delay_alu instid0(VALU_DEP_1) | instskip(SKIP_1) | instid1(VALU_DEP_1)
	v_or_b32_e32 v6, s9, v4
	v_mov_b32_e32 v5, 0
	v_cmp_ne_u64_e32 vcc_lo, 0, v[5:6]
                                        ; implicit-def: $vgpr5_vgpr6
	s_and_saveexec_b32 s2, vcc_lo
	s_delay_alu instid0(SALU_CYCLE_1)
	s_xor_b32 s3, exec_lo, s2
	s_cbranch_execnz .LBB10_8
; %bb.6:
	s_and_not1_saveexec_b32 s2, s3
	s_cbranch_execnz .LBB10_9
.LBB10_7:
	s_or_b32 exec_lo, exec_lo, s2
	s_cmp_eq_u64 s[6:7], 0
	s_mov_b64 s[2:3], 0
	s_cbranch_scc0 .LBB10_10
	s_branch .LBB10_16
.LBB10_8:
	v_cvt_f32_u32_e32 v0, s8
	v_cvt_f32_u32_e32 v2, s9
	s_sub_u32 s2, 0, s8
	s_subb_u32 s11, 0, s9
	s_delay_alu instid0(VALU_DEP_1) | instskip(NEXT) | instid1(VALU_DEP_1)
	v_fmamk_f32 v0, v2, 0x4f800000, v0
	v_rcp_f32_e32 v0, v0
	s_waitcnt_depctr 0xfff
	v_mul_f32_e32 v0, 0x5f7ffffc, v0
	s_delay_alu instid0(VALU_DEP_1) | instskip(NEXT) | instid1(VALU_DEP_1)
	v_mul_f32_e32 v2, 0x2f800000, v0
	v_trunc_f32_e32 v2, v2
	s_delay_alu instid0(VALU_DEP_1) | instskip(SKIP_1) | instid1(VALU_DEP_2)
	v_fmamk_f32 v0, v2, 0xcf800000, v0
	v_cvt_u32_f32_e32 v2, v2
	v_cvt_u32_f32_e32 v0, v0
	s_delay_alu instid0(VALU_DEP_2) | instskip(NEXT) | instid1(VALU_DEP_2)
	v_mul_lo_u32 v5, s2, v2
	v_mul_hi_u32 v6, s2, v0
	v_mul_lo_u32 v7, s11, v0
	s_delay_alu instid0(VALU_DEP_2) | instskip(SKIP_1) | instid1(VALU_DEP_2)
	v_add_nc_u32_e32 v5, v6, v5
	v_mul_lo_u32 v6, s2, v0
	v_add_nc_u32_e32 v5, v5, v7
	s_delay_alu instid0(VALU_DEP_2) | instskip(NEXT) | instid1(VALU_DEP_2)
	v_mul_hi_u32 v7, v0, v6
	v_mul_lo_u32 v8, v0, v5
	v_mul_hi_u32 v9, v0, v5
	v_mul_hi_u32 v10, v2, v6
	v_mul_lo_u32 v6, v2, v6
	v_mul_hi_u32 v11, v2, v5
	v_mul_lo_u32 v5, v2, v5
	v_add_co_u32 v7, vcc_lo, v7, v8
	v_add_co_ci_u32_e32 v8, vcc_lo, 0, v9, vcc_lo
	s_delay_alu instid0(VALU_DEP_2) | instskip(NEXT) | instid1(VALU_DEP_2)
	v_add_co_u32 v6, vcc_lo, v7, v6
	v_add_co_ci_u32_e32 v6, vcc_lo, v8, v10, vcc_lo
	v_add_co_ci_u32_e32 v7, vcc_lo, 0, v11, vcc_lo
	s_delay_alu instid0(VALU_DEP_2) | instskip(NEXT) | instid1(VALU_DEP_2)
	v_add_co_u32 v5, vcc_lo, v6, v5
	v_add_co_ci_u32_e32 v6, vcc_lo, 0, v7, vcc_lo
	s_delay_alu instid0(VALU_DEP_2) | instskip(NEXT) | instid1(VALU_DEP_2)
	v_add_co_u32 v0, vcc_lo, v0, v5
	v_add_co_ci_u32_e32 v2, vcc_lo, v2, v6, vcc_lo
	s_delay_alu instid0(VALU_DEP_2) | instskip(SKIP_1) | instid1(VALU_DEP_3)
	v_mul_hi_u32 v5, s2, v0
	v_mul_lo_u32 v7, s11, v0
	v_mul_lo_u32 v6, s2, v2
	s_delay_alu instid0(VALU_DEP_1) | instskip(SKIP_1) | instid1(VALU_DEP_2)
	v_add_nc_u32_e32 v5, v5, v6
	v_mul_lo_u32 v6, s2, v0
	v_add_nc_u32_e32 v5, v5, v7
	s_delay_alu instid0(VALU_DEP_2) | instskip(NEXT) | instid1(VALU_DEP_2)
	v_mul_hi_u32 v7, v0, v6
	v_mul_lo_u32 v8, v0, v5
	v_mul_hi_u32 v9, v0, v5
	v_mul_hi_u32 v10, v2, v6
	v_mul_lo_u32 v6, v2, v6
	v_mul_hi_u32 v11, v2, v5
	v_mul_lo_u32 v5, v2, v5
	v_add_co_u32 v7, vcc_lo, v7, v8
	v_add_co_ci_u32_e32 v8, vcc_lo, 0, v9, vcc_lo
	s_delay_alu instid0(VALU_DEP_2) | instskip(NEXT) | instid1(VALU_DEP_2)
	v_add_co_u32 v6, vcc_lo, v7, v6
	v_add_co_ci_u32_e32 v6, vcc_lo, v8, v10, vcc_lo
	v_add_co_ci_u32_e32 v7, vcc_lo, 0, v11, vcc_lo
	s_delay_alu instid0(VALU_DEP_2) | instskip(NEXT) | instid1(VALU_DEP_2)
	v_add_co_u32 v5, vcc_lo, v6, v5
	v_add_co_ci_u32_e32 v6, vcc_lo, 0, v7, vcc_lo
	s_delay_alu instid0(VALU_DEP_2) | instskip(NEXT) | instid1(VALU_DEP_2)
	v_add_co_u32 v0, vcc_lo, v0, v5
	v_add_co_ci_u32_e32 v2, vcc_lo, v2, v6, vcc_lo
	s_delay_alu instid0(VALU_DEP_2) | instskip(SKIP_1) | instid1(VALU_DEP_3)
	v_mul_hi_u32 v11, v3, v0
	v_mad_u64_u32 v[7:8], null, v4, v0, 0
	v_mad_u64_u32 v[5:6], null, v3, v2, 0
	;; [unrolled: 1-line block ×3, first 2 shown]
	s_delay_alu instid0(VALU_DEP_2) | instskip(NEXT) | instid1(VALU_DEP_3)
	v_add_co_u32 v0, vcc_lo, v11, v5
	v_add_co_ci_u32_e32 v2, vcc_lo, 0, v6, vcc_lo
	s_delay_alu instid0(VALU_DEP_2) | instskip(NEXT) | instid1(VALU_DEP_2)
	v_add_co_u32 v0, vcc_lo, v0, v7
	v_add_co_ci_u32_e32 v0, vcc_lo, v2, v8, vcc_lo
	v_add_co_ci_u32_e32 v2, vcc_lo, 0, v10, vcc_lo
	s_delay_alu instid0(VALU_DEP_2) | instskip(NEXT) | instid1(VALU_DEP_2)
	v_add_co_u32 v0, vcc_lo, v0, v9
	v_add_co_ci_u32_e32 v2, vcc_lo, 0, v2, vcc_lo
	s_delay_alu instid0(VALU_DEP_2) | instskip(SKIP_1) | instid1(VALU_DEP_3)
	v_mul_lo_u32 v7, s9, v0
	v_mad_u64_u32 v[5:6], null, s8, v0, 0
	v_mul_lo_u32 v0, s8, v2
	s_delay_alu instid0(VALU_DEP_2) | instskip(NEXT) | instid1(VALU_DEP_2)
	v_sub_co_u32 v5, vcc_lo, v3, v5
	v_add3_u32 v0, v6, v0, v7
	s_delay_alu instid0(VALU_DEP_1) | instskip(NEXT) | instid1(VALU_DEP_1)
	v_sub_nc_u32_e32 v2, v4, v0
	v_subrev_co_ci_u32_e64 v2, s2, s9, v2, vcc_lo
	s_delay_alu instid0(VALU_DEP_4) | instskip(SKIP_1) | instid1(VALU_DEP_3)
	v_sub_co_u32 v6, s2, v5, s8
	v_sub_co_ci_u32_e32 v0, vcc_lo, v4, v0, vcc_lo
	v_subrev_co_ci_u32_e64 v2, s2, 0, v2, s2
	s_delay_alu instid0(VALU_DEP_3) | instskip(SKIP_1) | instid1(VALU_DEP_3)
	v_cmp_le_u32_e32 vcc_lo, s8, v6
	v_cndmask_b32_e64 v4, 0, -1, vcc_lo
	v_cmp_le_u32_e32 vcc_lo, s9, v2
	v_cndmask_b32_e64 v7, 0, -1, vcc_lo
	;; [unrolled: 2-line block ×4, first 2 shown]
	v_cmp_eq_u32_e32 vcc_lo, s9, v2
	v_cndmask_b32_e32 v2, v7, v4, vcc_lo
	v_sub_co_u32 v4, vcc_lo, v6, s8
	v_cmp_eq_u32_e32 vcc_lo, s9, v0
	v_cndmask_b32_e32 v0, v9, v8, vcc_lo
	s_delay_alu instid0(VALU_DEP_4) | instskip(NEXT) | instid1(VALU_DEP_4)
	v_cmp_ne_u32_e32 vcc_lo, 0, v2
	v_cndmask_b32_e32 v2, v6, v4, vcc_lo
	s_delay_alu instid0(VALU_DEP_3) | instskip(NEXT) | instid1(VALU_DEP_2)
	v_cmp_ne_u32_e32 vcc_lo, 0, v0
	v_cndmask_b32_e32 v5, v5, v2, vcc_lo
	s_and_not1_saveexec_b32 s2, s3
	s_cbranch_execz .LBB10_7
.LBB10_9:
	v_cvt_f32_u32_e32 v0, s8
	s_sub_i32 s3, 0, s8
	s_delay_alu instid0(VALU_DEP_1) | instskip(SKIP_2) | instid1(VALU_DEP_1)
	v_rcp_iflag_f32_e32 v0, v0
	s_waitcnt_depctr 0xfff
	v_mul_f32_e32 v0, 0x4f7ffffe, v0
	v_cvt_u32_f32_e32 v0, v0
	s_delay_alu instid0(VALU_DEP_1) | instskip(NEXT) | instid1(VALU_DEP_1)
	v_mul_lo_u32 v2, s3, v0
	v_mul_hi_u32 v2, v0, v2
	s_delay_alu instid0(VALU_DEP_1) | instskip(NEXT) | instid1(VALU_DEP_1)
	v_add_nc_u32_e32 v0, v0, v2
	v_mul_hi_u32 v0, v3, v0
	s_delay_alu instid0(VALU_DEP_1) | instskip(NEXT) | instid1(VALU_DEP_1)
	v_mul_lo_u32 v0, v0, s8
	v_sub_nc_u32_e32 v0, v3, v0
	s_delay_alu instid0(VALU_DEP_1) | instskip(SKIP_1) | instid1(VALU_DEP_2)
	v_subrev_nc_u32_e32 v2, s8, v0
	v_cmp_le_u32_e32 vcc_lo, s8, v0
	v_cndmask_b32_e32 v0, v0, v2, vcc_lo
	s_delay_alu instid0(VALU_DEP_1) | instskip(SKIP_1) | instid1(VALU_DEP_2)
	v_subrev_nc_u32_e32 v2, s8, v0
	v_cmp_le_u32_e32 vcc_lo, s8, v0
	v_cndmask_b32_e32 v5, v0, v2, vcc_lo
	s_or_b32 exec_lo, exec_lo, s2
	s_cmp_eq_u64 s[6:7], 0
	s_mov_b64 s[2:3], 0
	s_cbranch_scc1 .LBB10_16
.LBB10_10:
	v_mul_lo_u32 v0, v3, s16
	s_load_b32 s0, s[0:1], 0x30
	s_delay_alu instid0(VALU_DEP_1) | instskip(NEXT) | instid1(VALU_DEP_1)
	v_sub_nc_u32_e32 v0, v1, v0
	v_add_nc_u32_e32 v2, 1, v0
	v_cvt_f32_i32_e32 v0, v0
	s_delay_alu instid0(VALU_DEP_2) | instskip(SKIP_1) | instid1(VALU_DEP_2)
	v_cvt_f32_i32_e32 v2, v2
	s_waitcnt lgkmcnt(0)
	v_mul_f32_e32 v0, s0, v0
	s_delay_alu instid0(VALU_DEP_2) | instskip(NEXT) | instid1(VALU_DEP_2)
	v_mul_f32_e32 v2, s0, v2
	v_ceil_f32_e32 v0, v0
	s_delay_alu instid0(VALU_DEP_2) | instskip(NEXT) | instid1(VALU_DEP_2)
	v_ceil_f32_e32 v2, v2
	v_cvt_i32_f32_e32 v3, v0
	s_delay_alu instid0(VALU_DEP_2) | instskip(NEXT) | instid1(VALU_DEP_2)
	v_cvt_i32_f32_e32 v2, v2
	v_min_i32_e32 v0, s10, v3
	s_delay_alu instid0(VALU_DEP_2) | instskip(NEXT) | instid1(VALU_DEP_1)
	v_min_i32_e32 v8, s10, v2
	v_cmp_gt_i32_e64 s0, v8, v3
	s_set_inst_prefetch_distance 0x1
	s_branch .LBB10_12
	.p2align	6
.LBB10_11:                              ;   in Loop: Header=BB10_12 Depth=1
	s_or_b32 exec_lo, exec_lo, s1
	v_ashrrev_i32_e32 v2, 31, v1
	s_add_u32 s2, s2, 1
	s_addc_u32 s3, s3, 0
	s_delay_alu instid0(SALU_CYCLE_1) | instskip(NEXT) | instid1(VALU_DEP_2)
	v_cmp_ge_u64_e64 s1, s[2:3], s[6:7]
	v_lshlrev_b64 v[6:7], 3, v[1:2]
	v_add_nc_u32_e32 v1, s12, v1
	s_delay_alu instid0(VALU_DEP_2) | instskip(NEXT) | instid1(VALU_DEP_3)
	v_add_co_u32 v6, vcc_lo, s18, v6
	v_add_co_ci_u32_e32 v7, vcc_lo, s19, v7, vcc_lo
	s_and_b32 vcc_lo, exec_lo, s1
	global_store_b64 v[6:7], v[3:4], off
	s_cbranch_vccnz .LBB10_16
.LBB10_12:                              ; =>This Loop Header: Depth=1
                                        ;     Child Loop BB10_14 Depth 2
	v_mov_b32_e32 v3, 0
	v_mov_b32_e32 v4, 0
	s_and_saveexec_b32 s1, s0
	s_cbranch_execz .LBB10_11
; %bb.13:                               ;   in Loop: Header=BB10_12 Depth=1
	v_mad_u64_u32 v[2:3], null, s2, s8, v[5:6]
	v_mov_b32_e32 v3, 0
	v_mov_b32_e32 v4, 0
	s_mov_b32 s9, 0
	s_delay_alu instid0(VALU_DEP_3)
	v_mad_u64_u32 v[6:7], null, v2, s10, v[0:1]
	v_mov_b32_e32 v2, v0
.LBB10_14:                              ;   Parent Loop BB10_12 Depth=1
                                        ; =>  This Inner Loop Header: Depth=2
	s_delay_alu instid0(VALU_DEP_2) | instskip(NEXT) | instid1(VALU_DEP_2)
	v_ashrrev_i32_e32 v7, 31, v6
	v_add_nc_u32_e32 v2, 1, v2
	s_delay_alu instid0(VALU_DEP_2) | instskip(SKIP_1) | instid1(VALU_DEP_2)
	v_lshlrev_b64 v[9:10], 3, v[6:7]
	v_add_nc_u32_e32 v6, 1, v6
	v_add_co_u32 v9, vcc_lo, s4, v9
	s_delay_alu instid0(VALU_DEP_3)
	v_add_co_ci_u32_e32 v10, vcc_lo, s5, v10, vcc_lo
	v_cmp_ge_i32_e32 vcc_lo, v2, v8
	global_load_b64 v[9:10], v[9:10], off
	s_or_b32 s9, vcc_lo, s9
	s_waitcnt vmcnt(0)
	v_add_f64 v[3:4], v[3:4], v[9:10]
	s_and_not1_b32 exec_lo, exec_lo, s9
	s_cbranch_execnz .LBB10_14
; %bb.15:                               ;   in Loop: Header=BB10_12 Depth=1
	s_or_b32 exec_lo, exec_lo, s9
	s_branch .LBB10_11
.LBB10_16:
	s_set_inst_prefetch_distance 0x2
	s_nop 0
	s_sendmsg sendmsg(MSG_DEALLOC_VGPRS)
	s_endpgm
	.section	.rodata,"a",@progbits
	.p2align	6, 0x0
	.amdhsa_kernel _ZN2at6native12_GLOBAL__N_137upsample_nearest1d_backward_out_frameIddXadL_ZNS0_40nearest_neighbor_bw_compute_source_indexEfiiEEEEvPKT_mmmmPS3_f
		.amdhsa_group_segment_fixed_size 0
		.amdhsa_private_segment_fixed_size 0
		.amdhsa_kernarg_size 312
		.amdhsa_user_sgpr_count 15
		.amdhsa_user_sgpr_dispatch_ptr 0
		.amdhsa_user_sgpr_queue_ptr 0
		.amdhsa_user_sgpr_kernarg_segment_ptr 1
		.amdhsa_user_sgpr_dispatch_id 0
		.amdhsa_user_sgpr_private_segment_size 0
		.amdhsa_wavefront_size32 1
		.amdhsa_uses_dynamic_stack 0
		.amdhsa_enable_private_segment 0
		.amdhsa_system_sgpr_workgroup_id_x 1
		.amdhsa_system_sgpr_workgroup_id_y 0
		.amdhsa_system_sgpr_workgroup_id_z 0
		.amdhsa_system_sgpr_workgroup_info 0
		.amdhsa_system_vgpr_workitem_id 0
		.amdhsa_next_free_vgpr 12
		.amdhsa_next_free_sgpr 20
		.amdhsa_reserve_vcc 1
		.amdhsa_float_round_mode_32 0
		.amdhsa_float_round_mode_16_64 0
		.amdhsa_float_denorm_mode_32 3
		.amdhsa_float_denorm_mode_16_64 3
		.amdhsa_dx10_clamp 1
		.amdhsa_ieee_mode 1
		.amdhsa_fp16_overflow 0
		.amdhsa_workgroup_processor_mode 1
		.amdhsa_memory_ordered 1
		.amdhsa_forward_progress 0
		.amdhsa_shared_vgpr_count 0
		.amdhsa_exception_fp_ieee_invalid_op 0
		.amdhsa_exception_fp_denorm_src 0
		.amdhsa_exception_fp_ieee_div_zero 0
		.amdhsa_exception_fp_ieee_overflow 0
		.amdhsa_exception_fp_ieee_underflow 0
		.amdhsa_exception_fp_ieee_inexact 0
		.amdhsa_exception_int_div_zero 0
	.end_amdhsa_kernel
	.section	.text._ZN2at6native12_GLOBAL__N_137upsample_nearest1d_backward_out_frameIddXadL_ZNS0_40nearest_neighbor_bw_compute_source_indexEfiiEEEEvPKT_mmmmPS3_f,"axG",@progbits,_ZN2at6native12_GLOBAL__N_137upsample_nearest1d_backward_out_frameIddXadL_ZNS0_40nearest_neighbor_bw_compute_source_indexEfiiEEEEvPKT_mmmmPS3_f,comdat
.Lfunc_end10:
	.size	_ZN2at6native12_GLOBAL__N_137upsample_nearest1d_backward_out_frameIddXadL_ZNS0_40nearest_neighbor_bw_compute_source_indexEfiiEEEEvPKT_mmmmPS3_f, .Lfunc_end10-_ZN2at6native12_GLOBAL__N_137upsample_nearest1d_backward_out_frameIddXadL_ZNS0_40nearest_neighbor_bw_compute_source_indexEfiiEEEEvPKT_mmmmPS3_f
                                        ; -- End function
	.section	.AMDGPU.csdata,"",@progbits
; Kernel info:
; codeLenInByte = 2248
; NumSgprs: 22
; NumVgprs: 12
; ScratchSize: 0
; MemoryBound: 0
; FloatMode: 240
; IeeeMode: 1
; LDSByteSize: 0 bytes/workgroup (compile time only)
; SGPRBlocks: 2
; VGPRBlocks: 1
; NumSGPRsForWavesPerEU: 22
; NumVGPRsForWavesPerEU: 12
; Occupancy: 16
; WaveLimiterHint : 0
; COMPUTE_PGM_RSRC2:SCRATCH_EN: 0
; COMPUTE_PGM_RSRC2:USER_SGPR: 15
; COMPUTE_PGM_RSRC2:TRAP_HANDLER: 0
; COMPUTE_PGM_RSRC2:TGID_X_EN: 1
; COMPUTE_PGM_RSRC2:TGID_Y_EN: 0
; COMPUTE_PGM_RSRC2:TGID_Z_EN: 0
; COMPUTE_PGM_RSRC2:TIDIG_COMP_CNT: 0
	.section	.text._ZN2at6native12_GLOBAL__N_137upsample_nearest1d_backward_out_frameIffXadL_ZNS0_40nearest_neighbor_bw_compute_source_indexEfiiEEEEvPKT_mmmmPS3_f,"axG",@progbits,_ZN2at6native12_GLOBAL__N_137upsample_nearest1d_backward_out_frameIffXadL_ZNS0_40nearest_neighbor_bw_compute_source_indexEfiiEEEEvPKT_mmmmPS3_f,comdat
	.globl	_ZN2at6native12_GLOBAL__N_137upsample_nearest1d_backward_out_frameIffXadL_ZNS0_40nearest_neighbor_bw_compute_source_indexEfiiEEEEvPKT_mmmmPS3_f ; -- Begin function _ZN2at6native12_GLOBAL__N_137upsample_nearest1d_backward_out_frameIffXadL_ZNS0_40nearest_neighbor_bw_compute_source_indexEfiiEEEEvPKT_mmmmPS3_f
	.p2align	8
	.type	_ZN2at6native12_GLOBAL__N_137upsample_nearest1d_backward_out_frameIffXadL_ZNS0_40nearest_neighbor_bw_compute_source_indexEfiiEEEEvPKT_mmmmPS3_f,@function
_ZN2at6native12_GLOBAL__N_137upsample_nearest1d_backward_out_frameIffXadL_ZNS0_40nearest_neighbor_bw_compute_source_indexEfiiEEEEvPKT_mmmmPS3_f: ; @_ZN2at6native12_GLOBAL__N_137upsample_nearest1d_backward_out_frameIffXadL_ZNS0_40nearest_neighbor_bw_compute_source_indexEfiiEEEEvPKT_mmmmPS3_f
; %bb.0:
	s_clause 0x2
	s_load_b32 s2, s[0:1], 0x44
	s_load_b128 s[16:19], s[0:1], 0x20
	s_load_b256 s[4:11], s[0:1], 0x0
	s_waitcnt lgkmcnt(0)
	s_and_b32 s2, s2, 0xffff
	s_delay_alu instid0(SALU_CYCLE_1)
	v_mad_u64_u32 v[1:2], null, s15, s2, v[0:1]
	s_mul_i32 s2, s16, s9
	s_mul_hi_u32 s3, s16, s8
	s_mul_i32 s12, s16, s8
	s_add_i32 s2, s3, s2
	s_mul_i32 s3, s17, s8
	s_delay_alu instid0(SALU_CYCLE_1) | instskip(NEXT) | instid1(VALU_DEP_1)
	s_add_i32 s13, s2, s3
	v_ashrrev_i32_e32 v2, 31, v1
	s_mov_b32 s2, exec_lo
	s_delay_alu instid0(VALU_DEP_1)
	v_cmpx_gt_u64_e64 s[12:13], v[1:2]
	s_cbranch_execz .LBB11_16
; %bb.1:
	v_or_b32_e32 v4, s17, v2
	v_mov_b32_e32 v3, 0
	s_delay_alu instid0(VALU_DEP_1) | instskip(SKIP_1) | instid1(SALU_CYCLE_1)
	v_cmp_ne_u64_e32 vcc_lo, 0, v[3:4]
                                        ; implicit-def: $vgpr3_vgpr4
	s_and_saveexec_b32 s2, vcc_lo
	s_xor_b32 s3, exec_lo, s2
	s_cbranch_execz .LBB11_3
; %bb.2:
	v_cvt_f32_u32_e32 v0, s16
	v_cvt_f32_u32_e32 v3, s17
	s_sub_u32 s2, 0, s16
	s_subb_u32 s11, 0, s17
	s_delay_alu instid0(VALU_DEP_1) | instskip(NEXT) | instid1(VALU_DEP_1)
	v_fmamk_f32 v0, v3, 0x4f800000, v0
	v_rcp_f32_e32 v0, v0
	s_waitcnt_depctr 0xfff
	v_mul_f32_e32 v0, 0x5f7ffffc, v0
	s_delay_alu instid0(VALU_DEP_1) | instskip(NEXT) | instid1(VALU_DEP_1)
	v_mul_f32_e32 v3, 0x2f800000, v0
	v_trunc_f32_e32 v3, v3
	s_delay_alu instid0(VALU_DEP_1) | instskip(SKIP_1) | instid1(VALU_DEP_2)
	v_fmamk_f32 v0, v3, 0xcf800000, v0
	v_cvt_u32_f32_e32 v3, v3
	v_cvt_u32_f32_e32 v0, v0
	s_delay_alu instid0(VALU_DEP_2) | instskip(NEXT) | instid1(VALU_DEP_2)
	v_mul_lo_u32 v4, s2, v3
	v_mul_hi_u32 v5, s2, v0
	v_mul_lo_u32 v6, s11, v0
	s_delay_alu instid0(VALU_DEP_2) | instskip(SKIP_1) | instid1(VALU_DEP_2)
	v_add_nc_u32_e32 v4, v5, v4
	v_mul_lo_u32 v5, s2, v0
	v_add_nc_u32_e32 v4, v4, v6
	s_delay_alu instid0(VALU_DEP_2) | instskip(NEXT) | instid1(VALU_DEP_2)
	v_mul_hi_u32 v6, v0, v5
	v_mul_lo_u32 v7, v0, v4
	v_mul_hi_u32 v8, v0, v4
	v_mul_hi_u32 v9, v3, v5
	v_mul_lo_u32 v5, v3, v5
	v_mul_hi_u32 v10, v3, v4
	v_mul_lo_u32 v4, v3, v4
	v_add_co_u32 v6, vcc_lo, v6, v7
	v_add_co_ci_u32_e32 v7, vcc_lo, 0, v8, vcc_lo
	s_delay_alu instid0(VALU_DEP_2) | instskip(NEXT) | instid1(VALU_DEP_2)
	v_add_co_u32 v5, vcc_lo, v6, v5
	v_add_co_ci_u32_e32 v5, vcc_lo, v7, v9, vcc_lo
	v_add_co_ci_u32_e32 v6, vcc_lo, 0, v10, vcc_lo
	s_delay_alu instid0(VALU_DEP_2) | instskip(NEXT) | instid1(VALU_DEP_2)
	v_add_co_u32 v4, vcc_lo, v5, v4
	v_add_co_ci_u32_e32 v5, vcc_lo, 0, v6, vcc_lo
	s_delay_alu instid0(VALU_DEP_2) | instskip(NEXT) | instid1(VALU_DEP_2)
	v_add_co_u32 v0, vcc_lo, v0, v4
	v_add_co_ci_u32_e32 v3, vcc_lo, v3, v5, vcc_lo
	s_delay_alu instid0(VALU_DEP_2) | instskip(SKIP_1) | instid1(VALU_DEP_3)
	v_mul_hi_u32 v4, s2, v0
	v_mul_lo_u32 v6, s11, v0
	v_mul_lo_u32 v5, s2, v3
	s_delay_alu instid0(VALU_DEP_1) | instskip(SKIP_1) | instid1(VALU_DEP_2)
	v_add_nc_u32_e32 v4, v4, v5
	v_mul_lo_u32 v5, s2, v0
	v_add_nc_u32_e32 v4, v4, v6
	s_delay_alu instid0(VALU_DEP_2) | instskip(NEXT) | instid1(VALU_DEP_2)
	v_mul_hi_u32 v6, v0, v5
	v_mul_lo_u32 v7, v0, v4
	v_mul_hi_u32 v8, v0, v4
	v_mul_hi_u32 v9, v3, v5
	v_mul_lo_u32 v5, v3, v5
	v_mul_hi_u32 v10, v3, v4
	v_mul_lo_u32 v4, v3, v4
	v_add_co_u32 v6, vcc_lo, v6, v7
	v_add_co_ci_u32_e32 v7, vcc_lo, 0, v8, vcc_lo
	s_delay_alu instid0(VALU_DEP_2) | instskip(NEXT) | instid1(VALU_DEP_2)
	v_add_co_u32 v5, vcc_lo, v6, v5
	v_add_co_ci_u32_e32 v5, vcc_lo, v7, v9, vcc_lo
	v_add_co_ci_u32_e32 v6, vcc_lo, 0, v10, vcc_lo
	s_delay_alu instid0(VALU_DEP_2) | instskip(NEXT) | instid1(VALU_DEP_2)
	v_add_co_u32 v4, vcc_lo, v5, v4
	v_add_co_ci_u32_e32 v5, vcc_lo, 0, v6, vcc_lo
	s_delay_alu instid0(VALU_DEP_2) | instskip(NEXT) | instid1(VALU_DEP_2)
	v_add_co_u32 v0, vcc_lo, v0, v4
	v_add_co_ci_u32_e32 v9, vcc_lo, v3, v5, vcc_lo
	s_delay_alu instid0(VALU_DEP_2) | instskip(SKIP_1) | instid1(VALU_DEP_3)
	v_mul_hi_u32 v10, v1, v0
	v_mad_u64_u32 v[5:6], null, v2, v0, 0
	v_mad_u64_u32 v[3:4], null, v1, v9, 0
	;; [unrolled: 1-line block ×3, first 2 shown]
	s_delay_alu instid0(VALU_DEP_2) | instskip(NEXT) | instid1(VALU_DEP_3)
	v_add_co_u32 v0, vcc_lo, v10, v3
	v_add_co_ci_u32_e32 v3, vcc_lo, 0, v4, vcc_lo
	s_delay_alu instid0(VALU_DEP_2) | instskip(NEXT) | instid1(VALU_DEP_2)
	v_add_co_u32 v0, vcc_lo, v0, v5
	v_add_co_ci_u32_e32 v0, vcc_lo, v3, v6, vcc_lo
	v_add_co_ci_u32_e32 v3, vcc_lo, 0, v8, vcc_lo
	s_delay_alu instid0(VALU_DEP_2) | instskip(NEXT) | instid1(VALU_DEP_2)
	v_add_co_u32 v0, vcc_lo, v0, v7
	v_add_co_ci_u32_e32 v5, vcc_lo, 0, v3, vcc_lo
	s_delay_alu instid0(VALU_DEP_2) | instskip(SKIP_1) | instid1(VALU_DEP_3)
	v_mul_lo_u32 v6, s17, v0
	v_mad_u64_u32 v[3:4], null, s16, v0, 0
	v_mul_lo_u32 v7, s16, v5
	s_delay_alu instid0(VALU_DEP_2) | instskip(NEXT) | instid1(VALU_DEP_2)
	v_sub_co_u32 v3, vcc_lo, v1, v3
	v_add3_u32 v4, v4, v7, v6
	s_delay_alu instid0(VALU_DEP_1) | instskip(NEXT) | instid1(VALU_DEP_1)
	v_sub_nc_u32_e32 v6, v2, v4
	v_subrev_co_ci_u32_e64 v6, s2, s17, v6, vcc_lo
	v_add_co_u32 v7, s2, v0, 2
	s_delay_alu instid0(VALU_DEP_1) | instskip(SKIP_3) | instid1(VALU_DEP_3)
	v_add_co_ci_u32_e64 v8, s2, 0, v5, s2
	v_sub_co_u32 v9, s2, v3, s16
	v_sub_co_ci_u32_e32 v2, vcc_lo, v2, v4, vcc_lo
	v_subrev_co_ci_u32_e64 v6, s2, 0, v6, s2
	v_cmp_le_u32_e32 vcc_lo, s16, v9
	s_delay_alu instid0(VALU_DEP_3) | instskip(SKIP_1) | instid1(VALU_DEP_4)
	v_cmp_eq_u32_e64 s2, s17, v2
	v_cndmask_b32_e64 v4, 0, -1, vcc_lo
	v_cmp_le_u32_e32 vcc_lo, s17, v6
	v_cndmask_b32_e64 v9, 0, -1, vcc_lo
	v_cmp_le_u32_e32 vcc_lo, s16, v3
	;; [unrolled: 2-line block ×3, first 2 shown]
	v_cndmask_b32_e64 v10, 0, -1, vcc_lo
	v_cmp_eq_u32_e32 vcc_lo, s17, v6
	s_delay_alu instid0(VALU_DEP_2) | instskip(SKIP_3) | instid1(VALU_DEP_3)
	v_cndmask_b32_e64 v2, v10, v3, s2
	v_cndmask_b32_e32 v4, v9, v4, vcc_lo
	v_add_co_u32 v6, vcc_lo, v0, 1
	v_add_co_ci_u32_e32 v9, vcc_lo, 0, v5, vcc_lo
	v_cmp_ne_u32_e32 vcc_lo, 0, v4
	s_delay_alu instid0(VALU_DEP_2) | instskip(SKIP_1) | instid1(VALU_DEP_2)
	v_dual_cndmask_b32 v3, v9, v8 :: v_dual_cndmask_b32 v6, v6, v7
	v_cmp_ne_u32_e32 vcc_lo, 0, v2
	v_dual_cndmask_b32 v4, v5, v3 :: v_dual_cndmask_b32 v3, v0, v6
.LBB11_3:
	s_and_not1_saveexec_b32 s2, s3
	s_cbranch_execz .LBB11_5
; %bb.4:
	v_cvt_f32_u32_e32 v0, s16
	s_sub_i32 s3, 0, s16
	s_delay_alu instid0(VALU_DEP_1) | instskip(SKIP_2) | instid1(VALU_DEP_1)
	v_rcp_iflag_f32_e32 v0, v0
	s_waitcnt_depctr 0xfff
	v_mul_f32_e32 v0, 0x4f7ffffe, v0
	v_cvt_u32_f32_e32 v0, v0
	s_delay_alu instid0(VALU_DEP_1) | instskip(NEXT) | instid1(VALU_DEP_1)
	v_mul_lo_u32 v2, s3, v0
	v_mul_hi_u32 v2, v0, v2
	s_delay_alu instid0(VALU_DEP_1) | instskip(NEXT) | instid1(VALU_DEP_1)
	v_add_nc_u32_e32 v0, v0, v2
	v_mul_hi_u32 v0, v1, v0
	s_delay_alu instid0(VALU_DEP_1) | instskip(SKIP_1) | instid1(VALU_DEP_2)
	v_mul_lo_u32 v2, v0, s16
	v_add_nc_u32_e32 v3, 1, v0
	v_sub_nc_u32_e32 v2, v1, v2
	s_delay_alu instid0(VALU_DEP_1) | instskip(SKIP_1) | instid1(VALU_DEP_2)
	v_subrev_nc_u32_e32 v4, s16, v2
	v_cmp_le_u32_e32 vcc_lo, s16, v2
	v_cndmask_b32_e32 v2, v2, v4, vcc_lo
	v_mov_b32_e32 v4, 0
	v_cndmask_b32_e32 v0, v0, v3, vcc_lo
	s_delay_alu instid0(VALU_DEP_3) | instskip(NEXT) | instid1(VALU_DEP_2)
	v_cmp_le_u32_e32 vcc_lo, s16, v2
	v_add_nc_u32_e32 v3, 1, v0
	s_delay_alu instid0(VALU_DEP_1)
	v_cndmask_b32_e32 v3, v0, v3, vcc_lo
.LBB11_5:
	s_or_b32 exec_lo, exec_lo, s2
	s_delay_alu instid0(VALU_DEP_1) | instskip(SKIP_1) | instid1(VALU_DEP_1)
	v_or_b32_e32 v6, s9, v4
	v_mov_b32_e32 v5, 0
	v_cmp_ne_u64_e32 vcc_lo, 0, v[5:6]
                                        ; implicit-def: $vgpr5_vgpr6
	s_and_saveexec_b32 s2, vcc_lo
	s_delay_alu instid0(SALU_CYCLE_1)
	s_xor_b32 s3, exec_lo, s2
	s_cbranch_execnz .LBB11_8
; %bb.6:
	s_and_not1_saveexec_b32 s2, s3
	s_cbranch_execnz .LBB11_9
.LBB11_7:
	s_or_b32 exec_lo, exec_lo, s2
	s_cmp_eq_u64 s[6:7], 0
	s_mov_b64 s[2:3], 0
	s_cbranch_scc0 .LBB11_10
	s_branch .LBB11_16
.LBB11_8:
	v_cvt_f32_u32_e32 v0, s8
	v_cvt_f32_u32_e32 v2, s9
	s_sub_u32 s2, 0, s8
	s_subb_u32 s11, 0, s9
	s_delay_alu instid0(VALU_DEP_1) | instskip(NEXT) | instid1(VALU_DEP_1)
	v_fmamk_f32 v0, v2, 0x4f800000, v0
	v_rcp_f32_e32 v0, v0
	s_waitcnt_depctr 0xfff
	v_mul_f32_e32 v0, 0x5f7ffffc, v0
	s_delay_alu instid0(VALU_DEP_1) | instskip(NEXT) | instid1(VALU_DEP_1)
	v_mul_f32_e32 v2, 0x2f800000, v0
	v_trunc_f32_e32 v2, v2
	s_delay_alu instid0(VALU_DEP_1) | instskip(SKIP_1) | instid1(VALU_DEP_2)
	v_fmamk_f32 v0, v2, 0xcf800000, v0
	v_cvt_u32_f32_e32 v2, v2
	v_cvt_u32_f32_e32 v0, v0
	s_delay_alu instid0(VALU_DEP_2) | instskip(NEXT) | instid1(VALU_DEP_2)
	v_mul_lo_u32 v5, s2, v2
	v_mul_hi_u32 v6, s2, v0
	v_mul_lo_u32 v7, s11, v0
	s_delay_alu instid0(VALU_DEP_2) | instskip(SKIP_1) | instid1(VALU_DEP_2)
	v_add_nc_u32_e32 v5, v6, v5
	v_mul_lo_u32 v6, s2, v0
	v_add_nc_u32_e32 v5, v5, v7
	s_delay_alu instid0(VALU_DEP_2) | instskip(NEXT) | instid1(VALU_DEP_2)
	v_mul_hi_u32 v7, v0, v6
	v_mul_lo_u32 v8, v0, v5
	v_mul_hi_u32 v9, v0, v5
	v_mul_hi_u32 v10, v2, v6
	v_mul_lo_u32 v6, v2, v6
	v_mul_hi_u32 v11, v2, v5
	v_mul_lo_u32 v5, v2, v5
	v_add_co_u32 v7, vcc_lo, v7, v8
	v_add_co_ci_u32_e32 v8, vcc_lo, 0, v9, vcc_lo
	s_delay_alu instid0(VALU_DEP_2) | instskip(NEXT) | instid1(VALU_DEP_2)
	v_add_co_u32 v6, vcc_lo, v7, v6
	v_add_co_ci_u32_e32 v6, vcc_lo, v8, v10, vcc_lo
	v_add_co_ci_u32_e32 v7, vcc_lo, 0, v11, vcc_lo
	s_delay_alu instid0(VALU_DEP_2) | instskip(NEXT) | instid1(VALU_DEP_2)
	v_add_co_u32 v5, vcc_lo, v6, v5
	v_add_co_ci_u32_e32 v6, vcc_lo, 0, v7, vcc_lo
	s_delay_alu instid0(VALU_DEP_2) | instskip(NEXT) | instid1(VALU_DEP_2)
	v_add_co_u32 v0, vcc_lo, v0, v5
	v_add_co_ci_u32_e32 v2, vcc_lo, v2, v6, vcc_lo
	s_delay_alu instid0(VALU_DEP_2) | instskip(SKIP_1) | instid1(VALU_DEP_3)
	v_mul_hi_u32 v5, s2, v0
	v_mul_lo_u32 v7, s11, v0
	v_mul_lo_u32 v6, s2, v2
	s_delay_alu instid0(VALU_DEP_1) | instskip(SKIP_1) | instid1(VALU_DEP_2)
	v_add_nc_u32_e32 v5, v5, v6
	v_mul_lo_u32 v6, s2, v0
	v_add_nc_u32_e32 v5, v5, v7
	s_delay_alu instid0(VALU_DEP_2) | instskip(NEXT) | instid1(VALU_DEP_2)
	v_mul_hi_u32 v7, v0, v6
	v_mul_lo_u32 v8, v0, v5
	v_mul_hi_u32 v9, v0, v5
	v_mul_hi_u32 v10, v2, v6
	v_mul_lo_u32 v6, v2, v6
	v_mul_hi_u32 v11, v2, v5
	v_mul_lo_u32 v5, v2, v5
	v_add_co_u32 v7, vcc_lo, v7, v8
	v_add_co_ci_u32_e32 v8, vcc_lo, 0, v9, vcc_lo
	s_delay_alu instid0(VALU_DEP_2) | instskip(NEXT) | instid1(VALU_DEP_2)
	v_add_co_u32 v6, vcc_lo, v7, v6
	v_add_co_ci_u32_e32 v6, vcc_lo, v8, v10, vcc_lo
	v_add_co_ci_u32_e32 v7, vcc_lo, 0, v11, vcc_lo
	s_delay_alu instid0(VALU_DEP_2) | instskip(NEXT) | instid1(VALU_DEP_2)
	v_add_co_u32 v5, vcc_lo, v6, v5
	v_add_co_ci_u32_e32 v6, vcc_lo, 0, v7, vcc_lo
	s_delay_alu instid0(VALU_DEP_2) | instskip(NEXT) | instid1(VALU_DEP_2)
	v_add_co_u32 v0, vcc_lo, v0, v5
	v_add_co_ci_u32_e32 v2, vcc_lo, v2, v6, vcc_lo
	s_delay_alu instid0(VALU_DEP_2) | instskip(SKIP_1) | instid1(VALU_DEP_3)
	v_mul_hi_u32 v11, v3, v0
	v_mad_u64_u32 v[7:8], null, v4, v0, 0
	v_mad_u64_u32 v[5:6], null, v3, v2, 0
	;; [unrolled: 1-line block ×3, first 2 shown]
	s_delay_alu instid0(VALU_DEP_2) | instskip(NEXT) | instid1(VALU_DEP_3)
	v_add_co_u32 v0, vcc_lo, v11, v5
	v_add_co_ci_u32_e32 v2, vcc_lo, 0, v6, vcc_lo
	s_delay_alu instid0(VALU_DEP_2) | instskip(NEXT) | instid1(VALU_DEP_2)
	v_add_co_u32 v0, vcc_lo, v0, v7
	v_add_co_ci_u32_e32 v0, vcc_lo, v2, v8, vcc_lo
	v_add_co_ci_u32_e32 v2, vcc_lo, 0, v10, vcc_lo
	s_delay_alu instid0(VALU_DEP_2) | instskip(NEXT) | instid1(VALU_DEP_2)
	v_add_co_u32 v0, vcc_lo, v0, v9
	v_add_co_ci_u32_e32 v2, vcc_lo, 0, v2, vcc_lo
	s_delay_alu instid0(VALU_DEP_2) | instskip(SKIP_1) | instid1(VALU_DEP_3)
	v_mul_lo_u32 v7, s9, v0
	v_mad_u64_u32 v[5:6], null, s8, v0, 0
	v_mul_lo_u32 v0, s8, v2
	s_delay_alu instid0(VALU_DEP_2) | instskip(NEXT) | instid1(VALU_DEP_2)
	v_sub_co_u32 v5, vcc_lo, v3, v5
	v_add3_u32 v0, v6, v0, v7
	s_delay_alu instid0(VALU_DEP_1) | instskip(NEXT) | instid1(VALU_DEP_1)
	v_sub_nc_u32_e32 v2, v4, v0
	v_subrev_co_ci_u32_e64 v2, s2, s9, v2, vcc_lo
	s_delay_alu instid0(VALU_DEP_4) | instskip(SKIP_1) | instid1(VALU_DEP_3)
	v_sub_co_u32 v6, s2, v5, s8
	v_sub_co_ci_u32_e32 v0, vcc_lo, v4, v0, vcc_lo
	v_subrev_co_ci_u32_e64 v2, s2, 0, v2, s2
	s_delay_alu instid0(VALU_DEP_3) | instskip(SKIP_1) | instid1(VALU_DEP_3)
	v_cmp_le_u32_e32 vcc_lo, s8, v6
	v_cndmask_b32_e64 v4, 0, -1, vcc_lo
	v_cmp_le_u32_e32 vcc_lo, s9, v2
	v_cndmask_b32_e64 v7, 0, -1, vcc_lo
	;; [unrolled: 2-line block ×4, first 2 shown]
	v_cmp_eq_u32_e32 vcc_lo, s9, v2
	v_cndmask_b32_e32 v2, v7, v4, vcc_lo
	v_sub_co_u32 v4, vcc_lo, v6, s8
	v_cmp_eq_u32_e32 vcc_lo, s9, v0
	v_cndmask_b32_e32 v0, v9, v8, vcc_lo
	s_delay_alu instid0(VALU_DEP_4) | instskip(NEXT) | instid1(VALU_DEP_4)
	v_cmp_ne_u32_e32 vcc_lo, 0, v2
	v_cndmask_b32_e32 v2, v6, v4, vcc_lo
	s_delay_alu instid0(VALU_DEP_3) | instskip(NEXT) | instid1(VALU_DEP_2)
	v_cmp_ne_u32_e32 vcc_lo, 0, v0
	v_cndmask_b32_e32 v5, v5, v2, vcc_lo
	s_and_not1_saveexec_b32 s2, s3
	s_cbranch_execz .LBB11_7
.LBB11_9:
	v_cvt_f32_u32_e32 v0, s8
	s_sub_i32 s3, 0, s8
	s_delay_alu instid0(VALU_DEP_1) | instskip(SKIP_2) | instid1(VALU_DEP_1)
	v_rcp_iflag_f32_e32 v0, v0
	s_waitcnt_depctr 0xfff
	v_mul_f32_e32 v0, 0x4f7ffffe, v0
	v_cvt_u32_f32_e32 v0, v0
	s_delay_alu instid0(VALU_DEP_1) | instskip(NEXT) | instid1(VALU_DEP_1)
	v_mul_lo_u32 v2, s3, v0
	v_mul_hi_u32 v2, v0, v2
	s_delay_alu instid0(VALU_DEP_1) | instskip(NEXT) | instid1(VALU_DEP_1)
	v_add_nc_u32_e32 v0, v0, v2
	v_mul_hi_u32 v0, v3, v0
	s_delay_alu instid0(VALU_DEP_1) | instskip(NEXT) | instid1(VALU_DEP_1)
	v_mul_lo_u32 v0, v0, s8
	v_sub_nc_u32_e32 v0, v3, v0
	s_delay_alu instid0(VALU_DEP_1) | instskip(SKIP_1) | instid1(VALU_DEP_2)
	v_subrev_nc_u32_e32 v2, s8, v0
	v_cmp_le_u32_e32 vcc_lo, s8, v0
	v_cndmask_b32_e32 v0, v0, v2, vcc_lo
	s_delay_alu instid0(VALU_DEP_1) | instskip(SKIP_1) | instid1(VALU_DEP_2)
	v_subrev_nc_u32_e32 v2, s8, v0
	v_cmp_le_u32_e32 vcc_lo, s8, v0
	v_cndmask_b32_e32 v5, v0, v2, vcc_lo
	s_or_b32 exec_lo, exec_lo, s2
	s_cmp_eq_u64 s[6:7], 0
	s_mov_b64 s[2:3], 0
	s_cbranch_scc1 .LBB11_16
.LBB11_10:
	v_mul_lo_u32 v0, v3, s16
	s_load_b32 s0, s[0:1], 0x30
	s_delay_alu instid0(VALU_DEP_1) | instskip(NEXT) | instid1(VALU_DEP_1)
	v_sub_nc_u32_e32 v0, v1, v0
	v_add_nc_u32_e32 v2, 1, v0
	v_cvt_f32_i32_e32 v0, v0
	s_delay_alu instid0(VALU_DEP_2) | instskip(SKIP_1) | instid1(VALU_DEP_2)
	v_cvt_f32_i32_e32 v2, v2
	s_waitcnt lgkmcnt(0)
	v_mul_f32_e32 v0, s0, v0
	s_delay_alu instid0(VALU_DEP_2) | instskip(NEXT) | instid1(VALU_DEP_2)
	v_mul_f32_e32 v2, s0, v2
	v_ceil_f32_e32 v0, v0
	s_delay_alu instid0(VALU_DEP_2) | instskip(NEXT) | instid1(VALU_DEP_2)
	v_ceil_f32_e32 v2, v2
	v_cvt_i32_f32_e32 v3, v0
	s_delay_alu instid0(VALU_DEP_2) | instskip(NEXT) | instid1(VALU_DEP_2)
	v_cvt_i32_f32_e32 v2, v2
	v_min_i32_e32 v0, s10, v3
	s_delay_alu instid0(VALU_DEP_2) | instskip(NEXT) | instid1(VALU_DEP_1)
	v_min_i32_e32 v4, s10, v2
	v_cmp_gt_i32_e64 s0, v4, v3
	s_set_inst_prefetch_distance 0x1
	s_branch .LBB11_12
	.p2align	6
.LBB11_11:                              ;   in Loop: Header=BB11_12 Depth=1
	s_or_b32 exec_lo, exec_lo, s1
	v_ashrrev_i32_e32 v2, 31, v1
	s_add_u32 s2, s2, 1
	s_addc_u32 s3, s3, 0
	s_delay_alu instid0(SALU_CYCLE_1) | instskip(NEXT) | instid1(VALU_DEP_2)
	v_cmp_ge_u64_e64 s1, s[2:3], s[6:7]
	v_lshlrev_b64 v[2:3], 2, v[1:2]
	v_add_nc_u32_e32 v1, s12, v1
	s_delay_alu instid0(VALU_DEP_2) | instskip(NEXT) | instid1(VALU_DEP_3)
	v_add_co_u32 v2, vcc_lo, s18, v2
	v_add_co_ci_u32_e32 v3, vcc_lo, s19, v3, vcc_lo
	s_and_b32 vcc_lo, exec_lo, s1
	global_store_b32 v[2:3], v6, off
	s_cbranch_vccnz .LBB11_16
.LBB11_12:                              ; =>This Loop Header: Depth=1
                                        ;     Child Loop BB11_14 Depth 2
	v_mov_b32_e32 v6, 0
	s_delay_alu instid0(VALU_DEP_2)
	s_and_saveexec_b32 s1, s0
	s_cbranch_execz .LBB11_11
; %bb.13:                               ;   in Loop: Header=BB11_12 Depth=1
	s_delay_alu instid0(VALU_DEP_1) | instskip(SKIP_2) | instid1(VALU_DEP_2)
	v_mad_u64_u32 v[6:7], null, s2, s8, v[5:6]
	s_mov_b32 s9, 0
	v_mov_b32_e32 v7, v0
	v_mad_u64_u32 v[2:3], null, v6, s10, v[0:1]
	v_mov_b32_e32 v6, 0
.LBB11_14:                              ;   Parent Loop BB11_12 Depth=1
                                        ; =>  This Inner Loop Header: Depth=2
	s_delay_alu instid0(VALU_DEP_2) | instskip(NEXT) | instid1(VALU_DEP_4)
	v_ashrrev_i32_e32 v3, 31, v2
	v_add_nc_u32_e32 v7, 1, v7
	s_delay_alu instid0(VALU_DEP_2) | instskip(SKIP_1) | instid1(VALU_DEP_2)
	v_lshlrev_b64 v[8:9], 2, v[2:3]
	v_add_nc_u32_e32 v2, 1, v2
	v_add_co_u32 v8, vcc_lo, s4, v8
	s_delay_alu instid0(VALU_DEP_3)
	v_add_co_ci_u32_e32 v9, vcc_lo, s5, v9, vcc_lo
	v_cmp_ge_i32_e32 vcc_lo, v7, v4
	global_load_b32 v3, v[8:9], off
	s_or_b32 s9, vcc_lo, s9
	s_waitcnt vmcnt(0)
	v_add_f32_e32 v6, v6, v3
	s_and_not1_b32 exec_lo, exec_lo, s9
	s_cbranch_execnz .LBB11_14
; %bb.15:                               ;   in Loop: Header=BB11_12 Depth=1
	s_or_b32 exec_lo, exec_lo, s9
	s_branch .LBB11_11
.LBB11_16:
	s_set_inst_prefetch_distance 0x2
	s_nop 0
	s_sendmsg sendmsg(MSG_DEALLOC_VGPRS)
	s_endpgm
	.section	.rodata,"a",@progbits
	.p2align	6, 0x0
	.amdhsa_kernel _ZN2at6native12_GLOBAL__N_137upsample_nearest1d_backward_out_frameIffXadL_ZNS0_40nearest_neighbor_bw_compute_source_indexEfiiEEEEvPKT_mmmmPS3_f
		.amdhsa_group_segment_fixed_size 0
		.amdhsa_private_segment_fixed_size 0
		.amdhsa_kernarg_size 312
		.amdhsa_user_sgpr_count 15
		.amdhsa_user_sgpr_dispatch_ptr 0
		.amdhsa_user_sgpr_queue_ptr 0
		.amdhsa_user_sgpr_kernarg_segment_ptr 1
		.amdhsa_user_sgpr_dispatch_id 0
		.amdhsa_user_sgpr_private_segment_size 0
		.amdhsa_wavefront_size32 1
		.amdhsa_uses_dynamic_stack 0
		.amdhsa_enable_private_segment 0
		.amdhsa_system_sgpr_workgroup_id_x 1
		.amdhsa_system_sgpr_workgroup_id_y 0
		.amdhsa_system_sgpr_workgroup_id_z 0
		.amdhsa_system_sgpr_workgroup_info 0
		.amdhsa_system_vgpr_workitem_id 0
		.amdhsa_next_free_vgpr 12
		.amdhsa_next_free_sgpr 20
		.amdhsa_reserve_vcc 1
		.amdhsa_float_round_mode_32 0
		.amdhsa_float_round_mode_16_64 0
		.amdhsa_float_denorm_mode_32 3
		.amdhsa_float_denorm_mode_16_64 3
		.amdhsa_dx10_clamp 1
		.amdhsa_ieee_mode 1
		.amdhsa_fp16_overflow 0
		.amdhsa_workgroup_processor_mode 1
		.amdhsa_memory_ordered 1
		.amdhsa_forward_progress 0
		.amdhsa_shared_vgpr_count 0
		.amdhsa_exception_fp_ieee_invalid_op 0
		.amdhsa_exception_fp_denorm_src 0
		.amdhsa_exception_fp_ieee_div_zero 0
		.amdhsa_exception_fp_ieee_overflow 0
		.amdhsa_exception_fp_ieee_underflow 0
		.amdhsa_exception_fp_ieee_inexact 0
		.amdhsa_exception_int_div_zero 0
	.end_amdhsa_kernel
	.section	.text._ZN2at6native12_GLOBAL__N_137upsample_nearest1d_backward_out_frameIffXadL_ZNS0_40nearest_neighbor_bw_compute_source_indexEfiiEEEEvPKT_mmmmPS3_f,"axG",@progbits,_ZN2at6native12_GLOBAL__N_137upsample_nearest1d_backward_out_frameIffXadL_ZNS0_40nearest_neighbor_bw_compute_source_indexEfiiEEEEvPKT_mmmmPS3_f,comdat
.Lfunc_end11:
	.size	_ZN2at6native12_GLOBAL__N_137upsample_nearest1d_backward_out_frameIffXadL_ZNS0_40nearest_neighbor_bw_compute_source_indexEfiiEEEEvPKT_mmmmPS3_f, .Lfunc_end11-_ZN2at6native12_GLOBAL__N_137upsample_nearest1d_backward_out_frameIffXadL_ZNS0_40nearest_neighbor_bw_compute_source_indexEfiiEEEEvPKT_mmmmPS3_f
                                        ; -- End function
	.section	.AMDGPU.csdata,"",@progbits
; Kernel info:
; codeLenInByte = 2240
; NumSgprs: 22
; NumVgprs: 12
; ScratchSize: 0
; MemoryBound: 0
; FloatMode: 240
; IeeeMode: 1
; LDSByteSize: 0 bytes/workgroup (compile time only)
; SGPRBlocks: 2
; VGPRBlocks: 1
; NumSGPRsForWavesPerEU: 22
; NumVGPRsForWavesPerEU: 12
; Occupancy: 16
; WaveLimiterHint : 0
; COMPUTE_PGM_RSRC2:SCRATCH_EN: 0
; COMPUTE_PGM_RSRC2:USER_SGPR: 15
; COMPUTE_PGM_RSRC2:TRAP_HANDLER: 0
; COMPUTE_PGM_RSRC2:TGID_X_EN: 1
; COMPUTE_PGM_RSRC2:TGID_Y_EN: 0
; COMPUTE_PGM_RSRC2:TGID_Z_EN: 0
; COMPUTE_PGM_RSRC2:TIDIG_COMP_CNT: 0
	.section	.text._ZN2at6native12_GLOBAL__N_137upsample_nearest1d_backward_out_frameIN3c104HalfEfXadL_ZNS0_40nearest_neighbor_bw_compute_source_indexEfiiEEEEvPKT_mmmmPS5_f,"axG",@progbits,_ZN2at6native12_GLOBAL__N_137upsample_nearest1d_backward_out_frameIN3c104HalfEfXadL_ZNS0_40nearest_neighbor_bw_compute_source_indexEfiiEEEEvPKT_mmmmPS5_f,comdat
	.globl	_ZN2at6native12_GLOBAL__N_137upsample_nearest1d_backward_out_frameIN3c104HalfEfXadL_ZNS0_40nearest_neighbor_bw_compute_source_indexEfiiEEEEvPKT_mmmmPS5_f ; -- Begin function _ZN2at6native12_GLOBAL__N_137upsample_nearest1d_backward_out_frameIN3c104HalfEfXadL_ZNS0_40nearest_neighbor_bw_compute_source_indexEfiiEEEEvPKT_mmmmPS5_f
	.p2align	8
	.type	_ZN2at6native12_GLOBAL__N_137upsample_nearest1d_backward_out_frameIN3c104HalfEfXadL_ZNS0_40nearest_neighbor_bw_compute_source_indexEfiiEEEEvPKT_mmmmPS5_f,@function
_ZN2at6native12_GLOBAL__N_137upsample_nearest1d_backward_out_frameIN3c104HalfEfXadL_ZNS0_40nearest_neighbor_bw_compute_source_indexEfiiEEEEvPKT_mmmmPS5_f: ; @_ZN2at6native12_GLOBAL__N_137upsample_nearest1d_backward_out_frameIN3c104HalfEfXadL_ZNS0_40nearest_neighbor_bw_compute_source_indexEfiiEEEEvPKT_mmmmPS5_f
; %bb.0:
	s_clause 0x2
	s_load_b32 s2, s[0:1], 0x44
	s_load_b128 s[16:19], s[0:1], 0x20
	s_load_b256 s[4:11], s[0:1], 0x0
	s_waitcnt lgkmcnt(0)
	s_and_b32 s2, s2, 0xffff
	s_delay_alu instid0(SALU_CYCLE_1)
	v_mad_u64_u32 v[1:2], null, s15, s2, v[0:1]
	s_mul_i32 s2, s16, s9
	s_mul_hi_u32 s3, s16, s8
	s_mul_i32 s12, s16, s8
	s_add_i32 s2, s3, s2
	s_mul_i32 s3, s17, s8
	s_delay_alu instid0(SALU_CYCLE_1) | instskip(NEXT) | instid1(VALU_DEP_1)
	s_add_i32 s13, s2, s3
	v_ashrrev_i32_e32 v2, 31, v1
	s_mov_b32 s2, exec_lo
	s_delay_alu instid0(VALU_DEP_1)
	v_cmpx_gt_u64_e64 s[12:13], v[1:2]
	s_cbranch_execz .LBB12_16
; %bb.1:
	v_or_b32_e32 v4, s17, v2
	v_mov_b32_e32 v3, 0
	s_delay_alu instid0(VALU_DEP_1) | instskip(SKIP_1) | instid1(SALU_CYCLE_1)
	v_cmp_ne_u64_e32 vcc_lo, 0, v[3:4]
                                        ; implicit-def: $vgpr3_vgpr4
	s_and_saveexec_b32 s2, vcc_lo
	s_xor_b32 s3, exec_lo, s2
	s_cbranch_execz .LBB12_3
; %bb.2:
	v_cvt_f32_u32_e32 v0, s16
	v_cvt_f32_u32_e32 v3, s17
	s_sub_u32 s2, 0, s16
	s_subb_u32 s11, 0, s17
	s_delay_alu instid0(VALU_DEP_1) | instskip(NEXT) | instid1(VALU_DEP_1)
	v_fmamk_f32 v0, v3, 0x4f800000, v0
	v_rcp_f32_e32 v0, v0
	s_waitcnt_depctr 0xfff
	v_mul_f32_e32 v0, 0x5f7ffffc, v0
	s_delay_alu instid0(VALU_DEP_1) | instskip(NEXT) | instid1(VALU_DEP_1)
	v_mul_f32_e32 v3, 0x2f800000, v0
	v_trunc_f32_e32 v3, v3
	s_delay_alu instid0(VALU_DEP_1) | instskip(SKIP_1) | instid1(VALU_DEP_2)
	v_fmamk_f32 v0, v3, 0xcf800000, v0
	v_cvt_u32_f32_e32 v3, v3
	v_cvt_u32_f32_e32 v0, v0
	s_delay_alu instid0(VALU_DEP_2) | instskip(NEXT) | instid1(VALU_DEP_2)
	v_mul_lo_u32 v4, s2, v3
	v_mul_hi_u32 v5, s2, v0
	v_mul_lo_u32 v6, s11, v0
	s_delay_alu instid0(VALU_DEP_2) | instskip(SKIP_1) | instid1(VALU_DEP_2)
	v_add_nc_u32_e32 v4, v5, v4
	v_mul_lo_u32 v5, s2, v0
	v_add_nc_u32_e32 v4, v4, v6
	s_delay_alu instid0(VALU_DEP_2) | instskip(NEXT) | instid1(VALU_DEP_2)
	v_mul_hi_u32 v6, v0, v5
	v_mul_lo_u32 v7, v0, v4
	v_mul_hi_u32 v8, v0, v4
	v_mul_hi_u32 v9, v3, v5
	v_mul_lo_u32 v5, v3, v5
	v_mul_hi_u32 v10, v3, v4
	v_mul_lo_u32 v4, v3, v4
	v_add_co_u32 v6, vcc_lo, v6, v7
	v_add_co_ci_u32_e32 v7, vcc_lo, 0, v8, vcc_lo
	s_delay_alu instid0(VALU_DEP_2) | instskip(NEXT) | instid1(VALU_DEP_2)
	v_add_co_u32 v5, vcc_lo, v6, v5
	v_add_co_ci_u32_e32 v5, vcc_lo, v7, v9, vcc_lo
	v_add_co_ci_u32_e32 v6, vcc_lo, 0, v10, vcc_lo
	s_delay_alu instid0(VALU_DEP_2) | instskip(NEXT) | instid1(VALU_DEP_2)
	v_add_co_u32 v4, vcc_lo, v5, v4
	v_add_co_ci_u32_e32 v5, vcc_lo, 0, v6, vcc_lo
	s_delay_alu instid0(VALU_DEP_2) | instskip(NEXT) | instid1(VALU_DEP_2)
	v_add_co_u32 v0, vcc_lo, v0, v4
	v_add_co_ci_u32_e32 v3, vcc_lo, v3, v5, vcc_lo
	s_delay_alu instid0(VALU_DEP_2) | instskip(SKIP_1) | instid1(VALU_DEP_3)
	v_mul_hi_u32 v4, s2, v0
	v_mul_lo_u32 v6, s11, v0
	v_mul_lo_u32 v5, s2, v3
	s_delay_alu instid0(VALU_DEP_1) | instskip(SKIP_1) | instid1(VALU_DEP_2)
	v_add_nc_u32_e32 v4, v4, v5
	v_mul_lo_u32 v5, s2, v0
	v_add_nc_u32_e32 v4, v4, v6
	s_delay_alu instid0(VALU_DEP_2) | instskip(NEXT) | instid1(VALU_DEP_2)
	v_mul_hi_u32 v6, v0, v5
	v_mul_lo_u32 v7, v0, v4
	v_mul_hi_u32 v8, v0, v4
	v_mul_hi_u32 v9, v3, v5
	v_mul_lo_u32 v5, v3, v5
	v_mul_hi_u32 v10, v3, v4
	v_mul_lo_u32 v4, v3, v4
	v_add_co_u32 v6, vcc_lo, v6, v7
	v_add_co_ci_u32_e32 v7, vcc_lo, 0, v8, vcc_lo
	s_delay_alu instid0(VALU_DEP_2) | instskip(NEXT) | instid1(VALU_DEP_2)
	v_add_co_u32 v5, vcc_lo, v6, v5
	v_add_co_ci_u32_e32 v5, vcc_lo, v7, v9, vcc_lo
	v_add_co_ci_u32_e32 v6, vcc_lo, 0, v10, vcc_lo
	s_delay_alu instid0(VALU_DEP_2) | instskip(NEXT) | instid1(VALU_DEP_2)
	v_add_co_u32 v4, vcc_lo, v5, v4
	v_add_co_ci_u32_e32 v5, vcc_lo, 0, v6, vcc_lo
	s_delay_alu instid0(VALU_DEP_2) | instskip(NEXT) | instid1(VALU_DEP_2)
	v_add_co_u32 v0, vcc_lo, v0, v4
	v_add_co_ci_u32_e32 v9, vcc_lo, v3, v5, vcc_lo
	s_delay_alu instid0(VALU_DEP_2) | instskip(SKIP_1) | instid1(VALU_DEP_3)
	v_mul_hi_u32 v10, v1, v0
	v_mad_u64_u32 v[5:6], null, v2, v0, 0
	v_mad_u64_u32 v[3:4], null, v1, v9, 0
	;; [unrolled: 1-line block ×3, first 2 shown]
	s_delay_alu instid0(VALU_DEP_2) | instskip(NEXT) | instid1(VALU_DEP_3)
	v_add_co_u32 v0, vcc_lo, v10, v3
	v_add_co_ci_u32_e32 v3, vcc_lo, 0, v4, vcc_lo
	s_delay_alu instid0(VALU_DEP_2) | instskip(NEXT) | instid1(VALU_DEP_2)
	v_add_co_u32 v0, vcc_lo, v0, v5
	v_add_co_ci_u32_e32 v0, vcc_lo, v3, v6, vcc_lo
	v_add_co_ci_u32_e32 v3, vcc_lo, 0, v8, vcc_lo
	s_delay_alu instid0(VALU_DEP_2) | instskip(NEXT) | instid1(VALU_DEP_2)
	v_add_co_u32 v0, vcc_lo, v0, v7
	v_add_co_ci_u32_e32 v5, vcc_lo, 0, v3, vcc_lo
	s_delay_alu instid0(VALU_DEP_2) | instskip(SKIP_1) | instid1(VALU_DEP_3)
	v_mul_lo_u32 v6, s17, v0
	v_mad_u64_u32 v[3:4], null, s16, v0, 0
	v_mul_lo_u32 v7, s16, v5
	s_delay_alu instid0(VALU_DEP_2) | instskip(NEXT) | instid1(VALU_DEP_2)
	v_sub_co_u32 v3, vcc_lo, v1, v3
	v_add3_u32 v4, v4, v7, v6
	s_delay_alu instid0(VALU_DEP_1) | instskip(NEXT) | instid1(VALU_DEP_1)
	v_sub_nc_u32_e32 v6, v2, v4
	v_subrev_co_ci_u32_e64 v6, s2, s17, v6, vcc_lo
	v_add_co_u32 v7, s2, v0, 2
	s_delay_alu instid0(VALU_DEP_1) | instskip(SKIP_3) | instid1(VALU_DEP_3)
	v_add_co_ci_u32_e64 v8, s2, 0, v5, s2
	v_sub_co_u32 v9, s2, v3, s16
	v_sub_co_ci_u32_e32 v2, vcc_lo, v2, v4, vcc_lo
	v_subrev_co_ci_u32_e64 v6, s2, 0, v6, s2
	v_cmp_le_u32_e32 vcc_lo, s16, v9
	s_delay_alu instid0(VALU_DEP_3) | instskip(SKIP_1) | instid1(VALU_DEP_4)
	v_cmp_eq_u32_e64 s2, s17, v2
	v_cndmask_b32_e64 v4, 0, -1, vcc_lo
	v_cmp_le_u32_e32 vcc_lo, s17, v6
	v_cndmask_b32_e64 v9, 0, -1, vcc_lo
	v_cmp_le_u32_e32 vcc_lo, s16, v3
	;; [unrolled: 2-line block ×3, first 2 shown]
	v_cndmask_b32_e64 v10, 0, -1, vcc_lo
	v_cmp_eq_u32_e32 vcc_lo, s17, v6
	s_delay_alu instid0(VALU_DEP_2) | instskip(SKIP_3) | instid1(VALU_DEP_3)
	v_cndmask_b32_e64 v2, v10, v3, s2
	v_cndmask_b32_e32 v4, v9, v4, vcc_lo
	v_add_co_u32 v6, vcc_lo, v0, 1
	v_add_co_ci_u32_e32 v9, vcc_lo, 0, v5, vcc_lo
	v_cmp_ne_u32_e32 vcc_lo, 0, v4
	s_delay_alu instid0(VALU_DEP_2) | instskip(SKIP_1) | instid1(VALU_DEP_2)
	v_dual_cndmask_b32 v3, v9, v8 :: v_dual_cndmask_b32 v6, v6, v7
	v_cmp_ne_u32_e32 vcc_lo, 0, v2
	v_dual_cndmask_b32 v4, v5, v3 :: v_dual_cndmask_b32 v3, v0, v6
.LBB12_3:
	s_and_not1_saveexec_b32 s2, s3
	s_cbranch_execz .LBB12_5
; %bb.4:
	v_cvt_f32_u32_e32 v0, s16
	s_sub_i32 s3, 0, s16
	s_delay_alu instid0(VALU_DEP_1) | instskip(SKIP_2) | instid1(VALU_DEP_1)
	v_rcp_iflag_f32_e32 v0, v0
	s_waitcnt_depctr 0xfff
	v_mul_f32_e32 v0, 0x4f7ffffe, v0
	v_cvt_u32_f32_e32 v0, v0
	s_delay_alu instid0(VALU_DEP_1) | instskip(NEXT) | instid1(VALU_DEP_1)
	v_mul_lo_u32 v2, s3, v0
	v_mul_hi_u32 v2, v0, v2
	s_delay_alu instid0(VALU_DEP_1) | instskip(NEXT) | instid1(VALU_DEP_1)
	v_add_nc_u32_e32 v0, v0, v2
	v_mul_hi_u32 v0, v1, v0
	s_delay_alu instid0(VALU_DEP_1) | instskip(SKIP_1) | instid1(VALU_DEP_2)
	v_mul_lo_u32 v2, v0, s16
	v_add_nc_u32_e32 v3, 1, v0
	v_sub_nc_u32_e32 v2, v1, v2
	s_delay_alu instid0(VALU_DEP_1) | instskip(SKIP_1) | instid1(VALU_DEP_2)
	v_subrev_nc_u32_e32 v4, s16, v2
	v_cmp_le_u32_e32 vcc_lo, s16, v2
	v_cndmask_b32_e32 v2, v2, v4, vcc_lo
	v_mov_b32_e32 v4, 0
	v_cndmask_b32_e32 v0, v0, v3, vcc_lo
	s_delay_alu instid0(VALU_DEP_3) | instskip(NEXT) | instid1(VALU_DEP_2)
	v_cmp_le_u32_e32 vcc_lo, s16, v2
	v_add_nc_u32_e32 v3, 1, v0
	s_delay_alu instid0(VALU_DEP_1)
	v_cndmask_b32_e32 v3, v0, v3, vcc_lo
.LBB12_5:
	s_or_b32 exec_lo, exec_lo, s2
	s_delay_alu instid0(VALU_DEP_1) | instskip(SKIP_1) | instid1(VALU_DEP_1)
	v_or_b32_e32 v6, s9, v4
	v_mov_b32_e32 v5, 0
	v_cmp_ne_u64_e32 vcc_lo, 0, v[5:6]
                                        ; implicit-def: $vgpr5_vgpr6
	s_and_saveexec_b32 s2, vcc_lo
	s_delay_alu instid0(SALU_CYCLE_1)
	s_xor_b32 s3, exec_lo, s2
	s_cbranch_execnz .LBB12_8
; %bb.6:
	s_and_not1_saveexec_b32 s2, s3
	s_cbranch_execnz .LBB12_9
.LBB12_7:
	s_or_b32 exec_lo, exec_lo, s2
	s_cmp_eq_u64 s[6:7], 0
	s_mov_b64 s[2:3], 0
	s_cbranch_scc0 .LBB12_10
	s_branch .LBB12_16
.LBB12_8:
	v_cvt_f32_u32_e32 v0, s8
	v_cvt_f32_u32_e32 v2, s9
	s_sub_u32 s2, 0, s8
	s_subb_u32 s11, 0, s9
	s_delay_alu instid0(VALU_DEP_1) | instskip(NEXT) | instid1(VALU_DEP_1)
	v_fmamk_f32 v0, v2, 0x4f800000, v0
	v_rcp_f32_e32 v0, v0
	s_waitcnt_depctr 0xfff
	v_mul_f32_e32 v0, 0x5f7ffffc, v0
	s_delay_alu instid0(VALU_DEP_1) | instskip(NEXT) | instid1(VALU_DEP_1)
	v_mul_f32_e32 v2, 0x2f800000, v0
	v_trunc_f32_e32 v2, v2
	s_delay_alu instid0(VALU_DEP_1) | instskip(SKIP_1) | instid1(VALU_DEP_2)
	v_fmamk_f32 v0, v2, 0xcf800000, v0
	v_cvt_u32_f32_e32 v2, v2
	v_cvt_u32_f32_e32 v0, v0
	s_delay_alu instid0(VALU_DEP_2) | instskip(NEXT) | instid1(VALU_DEP_2)
	v_mul_lo_u32 v5, s2, v2
	v_mul_hi_u32 v6, s2, v0
	v_mul_lo_u32 v7, s11, v0
	s_delay_alu instid0(VALU_DEP_2) | instskip(SKIP_1) | instid1(VALU_DEP_2)
	v_add_nc_u32_e32 v5, v6, v5
	v_mul_lo_u32 v6, s2, v0
	v_add_nc_u32_e32 v5, v5, v7
	s_delay_alu instid0(VALU_DEP_2) | instskip(NEXT) | instid1(VALU_DEP_2)
	v_mul_hi_u32 v7, v0, v6
	v_mul_lo_u32 v8, v0, v5
	v_mul_hi_u32 v9, v0, v5
	v_mul_hi_u32 v10, v2, v6
	v_mul_lo_u32 v6, v2, v6
	v_mul_hi_u32 v11, v2, v5
	v_mul_lo_u32 v5, v2, v5
	v_add_co_u32 v7, vcc_lo, v7, v8
	v_add_co_ci_u32_e32 v8, vcc_lo, 0, v9, vcc_lo
	s_delay_alu instid0(VALU_DEP_2) | instskip(NEXT) | instid1(VALU_DEP_2)
	v_add_co_u32 v6, vcc_lo, v7, v6
	v_add_co_ci_u32_e32 v6, vcc_lo, v8, v10, vcc_lo
	v_add_co_ci_u32_e32 v7, vcc_lo, 0, v11, vcc_lo
	s_delay_alu instid0(VALU_DEP_2) | instskip(NEXT) | instid1(VALU_DEP_2)
	v_add_co_u32 v5, vcc_lo, v6, v5
	v_add_co_ci_u32_e32 v6, vcc_lo, 0, v7, vcc_lo
	s_delay_alu instid0(VALU_DEP_2) | instskip(NEXT) | instid1(VALU_DEP_2)
	v_add_co_u32 v0, vcc_lo, v0, v5
	v_add_co_ci_u32_e32 v2, vcc_lo, v2, v6, vcc_lo
	s_delay_alu instid0(VALU_DEP_2) | instskip(SKIP_1) | instid1(VALU_DEP_3)
	v_mul_hi_u32 v5, s2, v0
	v_mul_lo_u32 v7, s11, v0
	v_mul_lo_u32 v6, s2, v2
	s_delay_alu instid0(VALU_DEP_1) | instskip(SKIP_1) | instid1(VALU_DEP_2)
	v_add_nc_u32_e32 v5, v5, v6
	v_mul_lo_u32 v6, s2, v0
	v_add_nc_u32_e32 v5, v5, v7
	s_delay_alu instid0(VALU_DEP_2) | instskip(NEXT) | instid1(VALU_DEP_2)
	v_mul_hi_u32 v7, v0, v6
	v_mul_lo_u32 v8, v0, v5
	v_mul_hi_u32 v9, v0, v5
	v_mul_hi_u32 v10, v2, v6
	v_mul_lo_u32 v6, v2, v6
	v_mul_hi_u32 v11, v2, v5
	v_mul_lo_u32 v5, v2, v5
	v_add_co_u32 v7, vcc_lo, v7, v8
	v_add_co_ci_u32_e32 v8, vcc_lo, 0, v9, vcc_lo
	s_delay_alu instid0(VALU_DEP_2) | instskip(NEXT) | instid1(VALU_DEP_2)
	v_add_co_u32 v6, vcc_lo, v7, v6
	v_add_co_ci_u32_e32 v6, vcc_lo, v8, v10, vcc_lo
	v_add_co_ci_u32_e32 v7, vcc_lo, 0, v11, vcc_lo
	s_delay_alu instid0(VALU_DEP_2) | instskip(NEXT) | instid1(VALU_DEP_2)
	v_add_co_u32 v5, vcc_lo, v6, v5
	v_add_co_ci_u32_e32 v6, vcc_lo, 0, v7, vcc_lo
	s_delay_alu instid0(VALU_DEP_2) | instskip(NEXT) | instid1(VALU_DEP_2)
	v_add_co_u32 v0, vcc_lo, v0, v5
	v_add_co_ci_u32_e32 v2, vcc_lo, v2, v6, vcc_lo
	s_delay_alu instid0(VALU_DEP_2) | instskip(SKIP_1) | instid1(VALU_DEP_3)
	v_mul_hi_u32 v11, v3, v0
	v_mad_u64_u32 v[7:8], null, v4, v0, 0
	v_mad_u64_u32 v[5:6], null, v3, v2, 0
	v_mad_u64_u32 v[9:10], null, v4, v2, 0
	s_delay_alu instid0(VALU_DEP_2) | instskip(NEXT) | instid1(VALU_DEP_3)
	v_add_co_u32 v0, vcc_lo, v11, v5
	v_add_co_ci_u32_e32 v2, vcc_lo, 0, v6, vcc_lo
	s_delay_alu instid0(VALU_DEP_2) | instskip(NEXT) | instid1(VALU_DEP_2)
	v_add_co_u32 v0, vcc_lo, v0, v7
	v_add_co_ci_u32_e32 v0, vcc_lo, v2, v8, vcc_lo
	v_add_co_ci_u32_e32 v2, vcc_lo, 0, v10, vcc_lo
	s_delay_alu instid0(VALU_DEP_2) | instskip(NEXT) | instid1(VALU_DEP_2)
	v_add_co_u32 v0, vcc_lo, v0, v9
	v_add_co_ci_u32_e32 v2, vcc_lo, 0, v2, vcc_lo
	s_delay_alu instid0(VALU_DEP_2) | instskip(SKIP_1) | instid1(VALU_DEP_3)
	v_mul_lo_u32 v7, s9, v0
	v_mad_u64_u32 v[5:6], null, s8, v0, 0
	v_mul_lo_u32 v0, s8, v2
	s_delay_alu instid0(VALU_DEP_2) | instskip(NEXT) | instid1(VALU_DEP_2)
	v_sub_co_u32 v5, vcc_lo, v3, v5
	v_add3_u32 v0, v6, v0, v7
	s_delay_alu instid0(VALU_DEP_1) | instskip(NEXT) | instid1(VALU_DEP_1)
	v_sub_nc_u32_e32 v2, v4, v0
	v_subrev_co_ci_u32_e64 v2, s2, s9, v2, vcc_lo
	s_delay_alu instid0(VALU_DEP_4) | instskip(SKIP_1) | instid1(VALU_DEP_3)
	v_sub_co_u32 v6, s2, v5, s8
	v_sub_co_ci_u32_e32 v0, vcc_lo, v4, v0, vcc_lo
	v_subrev_co_ci_u32_e64 v2, s2, 0, v2, s2
	s_delay_alu instid0(VALU_DEP_3) | instskip(SKIP_1) | instid1(VALU_DEP_3)
	v_cmp_le_u32_e32 vcc_lo, s8, v6
	v_cndmask_b32_e64 v4, 0, -1, vcc_lo
	v_cmp_le_u32_e32 vcc_lo, s9, v2
	v_cndmask_b32_e64 v7, 0, -1, vcc_lo
	v_cmp_le_u32_e32 vcc_lo, s8, v5
	v_cndmask_b32_e64 v8, 0, -1, vcc_lo
	v_cmp_le_u32_e32 vcc_lo, s9, v0
	v_cndmask_b32_e64 v9, 0, -1, vcc_lo
	v_cmp_eq_u32_e32 vcc_lo, s9, v2
	v_cndmask_b32_e32 v2, v7, v4, vcc_lo
	v_sub_co_u32 v4, vcc_lo, v6, s8
	v_cmp_eq_u32_e32 vcc_lo, s9, v0
	v_cndmask_b32_e32 v0, v9, v8, vcc_lo
	s_delay_alu instid0(VALU_DEP_4) | instskip(NEXT) | instid1(VALU_DEP_4)
	v_cmp_ne_u32_e32 vcc_lo, 0, v2
	v_cndmask_b32_e32 v2, v6, v4, vcc_lo
	s_delay_alu instid0(VALU_DEP_3) | instskip(NEXT) | instid1(VALU_DEP_2)
	v_cmp_ne_u32_e32 vcc_lo, 0, v0
	v_cndmask_b32_e32 v5, v5, v2, vcc_lo
	s_and_not1_saveexec_b32 s2, s3
	s_cbranch_execz .LBB12_7
.LBB12_9:
	v_cvt_f32_u32_e32 v0, s8
	s_sub_i32 s3, 0, s8
	s_delay_alu instid0(VALU_DEP_1) | instskip(SKIP_2) | instid1(VALU_DEP_1)
	v_rcp_iflag_f32_e32 v0, v0
	s_waitcnt_depctr 0xfff
	v_mul_f32_e32 v0, 0x4f7ffffe, v0
	v_cvt_u32_f32_e32 v0, v0
	s_delay_alu instid0(VALU_DEP_1) | instskip(NEXT) | instid1(VALU_DEP_1)
	v_mul_lo_u32 v2, s3, v0
	v_mul_hi_u32 v2, v0, v2
	s_delay_alu instid0(VALU_DEP_1) | instskip(NEXT) | instid1(VALU_DEP_1)
	v_add_nc_u32_e32 v0, v0, v2
	v_mul_hi_u32 v0, v3, v0
	s_delay_alu instid0(VALU_DEP_1) | instskip(NEXT) | instid1(VALU_DEP_1)
	v_mul_lo_u32 v0, v0, s8
	v_sub_nc_u32_e32 v0, v3, v0
	s_delay_alu instid0(VALU_DEP_1) | instskip(SKIP_1) | instid1(VALU_DEP_2)
	v_subrev_nc_u32_e32 v2, s8, v0
	v_cmp_le_u32_e32 vcc_lo, s8, v0
	v_cndmask_b32_e32 v0, v0, v2, vcc_lo
	s_delay_alu instid0(VALU_DEP_1) | instskip(SKIP_1) | instid1(VALU_DEP_2)
	v_subrev_nc_u32_e32 v2, s8, v0
	v_cmp_le_u32_e32 vcc_lo, s8, v0
	v_cndmask_b32_e32 v5, v0, v2, vcc_lo
	s_or_b32 exec_lo, exec_lo, s2
	s_cmp_eq_u64 s[6:7], 0
	s_mov_b64 s[2:3], 0
	s_cbranch_scc1 .LBB12_16
.LBB12_10:
	v_mul_lo_u32 v0, v3, s16
	s_load_b32 s0, s[0:1], 0x30
	s_delay_alu instid0(VALU_DEP_1) | instskip(NEXT) | instid1(VALU_DEP_1)
	v_sub_nc_u32_e32 v0, v1, v0
	v_add_nc_u32_e32 v2, 1, v0
	v_cvt_f32_i32_e32 v0, v0
	s_delay_alu instid0(VALU_DEP_2) | instskip(SKIP_1) | instid1(VALU_DEP_2)
	v_cvt_f32_i32_e32 v2, v2
	s_waitcnt lgkmcnt(0)
	v_mul_f32_e32 v0, s0, v0
	s_delay_alu instid0(VALU_DEP_2) | instskip(NEXT) | instid1(VALU_DEP_2)
	v_mul_f32_e32 v2, s0, v2
	v_ceil_f32_e32 v0, v0
	s_delay_alu instid0(VALU_DEP_2) | instskip(NEXT) | instid1(VALU_DEP_2)
	v_ceil_f32_e32 v2, v2
	v_cvt_i32_f32_e32 v3, v0
	s_delay_alu instid0(VALU_DEP_2) | instskip(NEXT) | instid1(VALU_DEP_2)
	v_cvt_i32_f32_e32 v2, v2
	v_min_i32_e32 v0, s10, v3
	s_delay_alu instid0(VALU_DEP_2) | instskip(NEXT) | instid1(VALU_DEP_1)
	v_min_i32_e32 v4, s10, v2
	v_cmp_gt_i32_e64 s0, v4, v3
	s_set_inst_prefetch_distance 0x1
	s_branch .LBB12_12
	.p2align	6
.LBB12_11:                              ;   in Loop: Header=BB12_12 Depth=1
	s_or_b32 exec_lo, exec_lo, s1
	v_ashrrev_i32_e32 v2, 31, v1
	s_add_u32 s2, s2, 1
	s_addc_u32 s3, s3, 0
	v_cvt_f16_f32_e32 v6, v6
	v_cmp_ge_u64_e64 s1, s[2:3], s[6:7]
	v_lshlrev_b64 v[2:3], 1, v[1:2]
	v_add_nc_u32_e32 v1, s12, v1
	s_delay_alu instid0(VALU_DEP_2) | instskip(NEXT) | instid1(VALU_DEP_3)
	v_add_co_u32 v2, vcc_lo, s18, v2
	v_add_co_ci_u32_e32 v3, vcc_lo, s19, v3, vcc_lo
	s_and_b32 vcc_lo, exec_lo, s1
	global_store_b16 v[2:3], v6, off
	s_cbranch_vccnz .LBB12_16
.LBB12_12:                              ; =>This Loop Header: Depth=1
                                        ;     Child Loop BB12_14 Depth 2
	v_mov_b32_e32 v6, 0
	s_delay_alu instid0(VALU_DEP_2)
	s_and_saveexec_b32 s1, s0
	s_cbranch_execz .LBB12_11
; %bb.13:                               ;   in Loop: Header=BB12_12 Depth=1
	s_delay_alu instid0(VALU_DEP_1) | instskip(SKIP_2) | instid1(VALU_DEP_2)
	v_mad_u64_u32 v[6:7], null, s2, s8, v[5:6]
	s_mov_b32 s9, 0
	v_mov_b32_e32 v7, v0
	v_mad_u64_u32 v[2:3], null, v6, s10, v[0:1]
	v_mov_b32_e32 v6, 0
.LBB12_14:                              ;   Parent Loop BB12_12 Depth=1
                                        ; =>  This Inner Loop Header: Depth=2
	s_delay_alu instid0(VALU_DEP_2) | instskip(NEXT) | instid1(VALU_DEP_4)
	v_ashrrev_i32_e32 v3, 31, v2
	v_add_nc_u32_e32 v7, 1, v7
	s_delay_alu instid0(VALU_DEP_2) | instskip(SKIP_1) | instid1(VALU_DEP_2)
	v_lshlrev_b64 v[8:9], 1, v[2:3]
	v_add_nc_u32_e32 v2, 1, v2
	v_add_co_u32 v8, vcc_lo, s4, v8
	s_delay_alu instid0(VALU_DEP_3)
	v_add_co_ci_u32_e32 v9, vcc_lo, s5, v9, vcc_lo
	v_cmp_ge_i32_e32 vcc_lo, v7, v4
	global_load_u16 v3, v[8:9], off
	s_or_b32 s9, vcc_lo, s9
	s_waitcnt vmcnt(0)
	v_cvt_f32_f16_e32 v3, v3
	s_delay_alu instid0(VALU_DEP_1)
	v_add_f32_e32 v6, v6, v3
	s_and_not1_b32 exec_lo, exec_lo, s9
	s_cbranch_execnz .LBB12_14
; %bb.15:                               ;   in Loop: Header=BB12_12 Depth=1
	s_or_b32 exec_lo, exec_lo, s9
	s_branch .LBB12_11
.LBB12_16:
	s_set_inst_prefetch_distance 0x2
	s_nop 0
	s_sendmsg sendmsg(MSG_DEALLOC_VGPRS)
	s_endpgm
	.section	.rodata,"a",@progbits
	.p2align	6, 0x0
	.amdhsa_kernel _ZN2at6native12_GLOBAL__N_137upsample_nearest1d_backward_out_frameIN3c104HalfEfXadL_ZNS0_40nearest_neighbor_bw_compute_source_indexEfiiEEEEvPKT_mmmmPS5_f
		.amdhsa_group_segment_fixed_size 0
		.amdhsa_private_segment_fixed_size 0
		.amdhsa_kernarg_size 312
		.amdhsa_user_sgpr_count 15
		.amdhsa_user_sgpr_dispatch_ptr 0
		.amdhsa_user_sgpr_queue_ptr 0
		.amdhsa_user_sgpr_kernarg_segment_ptr 1
		.amdhsa_user_sgpr_dispatch_id 0
		.amdhsa_user_sgpr_private_segment_size 0
		.amdhsa_wavefront_size32 1
		.amdhsa_uses_dynamic_stack 0
		.amdhsa_enable_private_segment 0
		.amdhsa_system_sgpr_workgroup_id_x 1
		.amdhsa_system_sgpr_workgroup_id_y 0
		.amdhsa_system_sgpr_workgroup_id_z 0
		.amdhsa_system_sgpr_workgroup_info 0
		.amdhsa_system_vgpr_workitem_id 0
		.amdhsa_next_free_vgpr 12
		.amdhsa_next_free_sgpr 20
		.amdhsa_reserve_vcc 1
		.amdhsa_float_round_mode_32 0
		.amdhsa_float_round_mode_16_64 0
		.amdhsa_float_denorm_mode_32 3
		.amdhsa_float_denorm_mode_16_64 3
		.amdhsa_dx10_clamp 1
		.amdhsa_ieee_mode 1
		.amdhsa_fp16_overflow 0
		.amdhsa_workgroup_processor_mode 1
		.amdhsa_memory_ordered 1
		.amdhsa_forward_progress 0
		.amdhsa_shared_vgpr_count 0
		.amdhsa_exception_fp_ieee_invalid_op 0
		.amdhsa_exception_fp_denorm_src 0
		.amdhsa_exception_fp_ieee_div_zero 0
		.amdhsa_exception_fp_ieee_overflow 0
		.amdhsa_exception_fp_ieee_underflow 0
		.amdhsa_exception_fp_ieee_inexact 0
		.amdhsa_exception_int_div_zero 0
	.end_amdhsa_kernel
	.section	.text._ZN2at6native12_GLOBAL__N_137upsample_nearest1d_backward_out_frameIN3c104HalfEfXadL_ZNS0_40nearest_neighbor_bw_compute_source_indexEfiiEEEEvPKT_mmmmPS5_f,"axG",@progbits,_ZN2at6native12_GLOBAL__N_137upsample_nearest1d_backward_out_frameIN3c104HalfEfXadL_ZNS0_40nearest_neighbor_bw_compute_source_indexEfiiEEEEvPKT_mmmmPS5_f,comdat
.Lfunc_end12:
	.size	_ZN2at6native12_GLOBAL__N_137upsample_nearest1d_backward_out_frameIN3c104HalfEfXadL_ZNS0_40nearest_neighbor_bw_compute_source_indexEfiiEEEEvPKT_mmmmPS5_f, .Lfunc_end12-_ZN2at6native12_GLOBAL__N_137upsample_nearest1d_backward_out_frameIN3c104HalfEfXadL_ZNS0_40nearest_neighbor_bw_compute_source_indexEfiiEEEEvPKT_mmmmPS5_f
                                        ; -- End function
	.section	.AMDGPU.csdata,"",@progbits
; Kernel info:
; codeLenInByte = 2248
; NumSgprs: 22
; NumVgprs: 12
; ScratchSize: 0
; MemoryBound: 0
; FloatMode: 240
; IeeeMode: 1
; LDSByteSize: 0 bytes/workgroup (compile time only)
; SGPRBlocks: 2
; VGPRBlocks: 1
; NumSGPRsForWavesPerEU: 22
; NumVGPRsForWavesPerEU: 12
; Occupancy: 16
; WaveLimiterHint : 0
; COMPUTE_PGM_RSRC2:SCRATCH_EN: 0
; COMPUTE_PGM_RSRC2:USER_SGPR: 15
; COMPUTE_PGM_RSRC2:TRAP_HANDLER: 0
; COMPUTE_PGM_RSRC2:TGID_X_EN: 1
; COMPUTE_PGM_RSRC2:TGID_Y_EN: 0
; COMPUTE_PGM_RSRC2:TGID_Z_EN: 0
; COMPUTE_PGM_RSRC2:TIDIG_COMP_CNT: 0
	.section	.text._ZN2at6native12_GLOBAL__N_137upsample_nearest1d_backward_out_frameIN3c108BFloat16EfXadL_ZNS0_40nearest_neighbor_bw_compute_source_indexEfiiEEEEvPKT_mmmmPS5_f,"axG",@progbits,_ZN2at6native12_GLOBAL__N_137upsample_nearest1d_backward_out_frameIN3c108BFloat16EfXadL_ZNS0_40nearest_neighbor_bw_compute_source_indexEfiiEEEEvPKT_mmmmPS5_f,comdat
	.globl	_ZN2at6native12_GLOBAL__N_137upsample_nearest1d_backward_out_frameIN3c108BFloat16EfXadL_ZNS0_40nearest_neighbor_bw_compute_source_indexEfiiEEEEvPKT_mmmmPS5_f ; -- Begin function _ZN2at6native12_GLOBAL__N_137upsample_nearest1d_backward_out_frameIN3c108BFloat16EfXadL_ZNS0_40nearest_neighbor_bw_compute_source_indexEfiiEEEEvPKT_mmmmPS5_f
	.p2align	8
	.type	_ZN2at6native12_GLOBAL__N_137upsample_nearest1d_backward_out_frameIN3c108BFloat16EfXadL_ZNS0_40nearest_neighbor_bw_compute_source_indexEfiiEEEEvPKT_mmmmPS5_f,@function
_ZN2at6native12_GLOBAL__N_137upsample_nearest1d_backward_out_frameIN3c108BFloat16EfXadL_ZNS0_40nearest_neighbor_bw_compute_source_indexEfiiEEEEvPKT_mmmmPS5_f: ; @_ZN2at6native12_GLOBAL__N_137upsample_nearest1d_backward_out_frameIN3c108BFloat16EfXadL_ZNS0_40nearest_neighbor_bw_compute_source_indexEfiiEEEEvPKT_mmmmPS5_f
; %bb.0:
	s_clause 0x2
	s_load_b32 s2, s[0:1], 0x44
	s_load_b128 s[16:19], s[0:1], 0x20
	s_load_b256 s[4:11], s[0:1], 0x0
	s_waitcnt lgkmcnt(0)
	s_and_b32 s2, s2, 0xffff
	s_delay_alu instid0(SALU_CYCLE_1)
	v_mad_u64_u32 v[1:2], null, s15, s2, v[0:1]
	s_mul_i32 s2, s16, s9
	s_mul_hi_u32 s3, s16, s8
	s_mul_i32 s12, s16, s8
	s_add_i32 s2, s3, s2
	s_mul_i32 s3, s17, s8
	s_delay_alu instid0(SALU_CYCLE_1) | instskip(NEXT) | instid1(VALU_DEP_1)
	s_add_i32 s13, s2, s3
	v_ashrrev_i32_e32 v2, 31, v1
	s_mov_b32 s2, exec_lo
	s_delay_alu instid0(VALU_DEP_1)
	v_cmpx_gt_u64_e64 s[12:13], v[1:2]
	s_cbranch_execz .LBB13_16
; %bb.1:
	v_or_b32_e32 v4, s17, v2
	v_mov_b32_e32 v3, 0
	s_delay_alu instid0(VALU_DEP_1) | instskip(SKIP_1) | instid1(SALU_CYCLE_1)
	v_cmp_ne_u64_e32 vcc_lo, 0, v[3:4]
                                        ; implicit-def: $vgpr3_vgpr4
	s_and_saveexec_b32 s2, vcc_lo
	s_xor_b32 s3, exec_lo, s2
	s_cbranch_execz .LBB13_3
; %bb.2:
	v_cvt_f32_u32_e32 v0, s16
	v_cvt_f32_u32_e32 v3, s17
	s_sub_u32 s2, 0, s16
	s_subb_u32 s11, 0, s17
	s_delay_alu instid0(VALU_DEP_1) | instskip(NEXT) | instid1(VALU_DEP_1)
	v_fmamk_f32 v0, v3, 0x4f800000, v0
	v_rcp_f32_e32 v0, v0
	s_waitcnt_depctr 0xfff
	v_mul_f32_e32 v0, 0x5f7ffffc, v0
	s_delay_alu instid0(VALU_DEP_1) | instskip(NEXT) | instid1(VALU_DEP_1)
	v_mul_f32_e32 v3, 0x2f800000, v0
	v_trunc_f32_e32 v3, v3
	s_delay_alu instid0(VALU_DEP_1) | instskip(SKIP_1) | instid1(VALU_DEP_2)
	v_fmamk_f32 v0, v3, 0xcf800000, v0
	v_cvt_u32_f32_e32 v3, v3
	v_cvt_u32_f32_e32 v0, v0
	s_delay_alu instid0(VALU_DEP_2) | instskip(NEXT) | instid1(VALU_DEP_2)
	v_mul_lo_u32 v4, s2, v3
	v_mul_hi_u32 v5, s2, v0
	v_mul_lo_u32 v6, s11, v0
	s_delay_alu instid0(VALU_DEP_2) | instskip(SKIP_1) | instid1(VALU_DEP_2)
	v_add_nc_u32_e32 v4, v5, v4
	v_mul_lo_u32 v5, s2, v0
	v_add_nc_u32_e32 v4, v4, v6
	s_delay_alu instid0(VALU_DEP_2) | instskip(NEXT) | instid1(VALU_DEP_2)
	v_mul_hi_u32 v6, v0, v5
	v_mul_lo_u32 v7, v0, v4
	v_mul_hi_u32 v8, v0, v4
	v_mul_hi_u32 v9, v3, v5
	v_mul_lo_u32 v5, v3, v5
	v_mul_hi_u32 v10, v3, v4
	v_mul_lo_u32 v4, v3, v4
	v_add_co_u32 v6, vcc_lo, v6, v7
	v_add_co_ci_u32_e32 v7, vcc_lo, 0, v8, vcc_lo
	s_delay_alu instid0(VALU_DEP_2) | instskip(NEXT) | instid1(VALU_DEP_2)
	v_add_co_u32 v5, vcc_lo, v6, v5
	v_add_co_ci_u32_e32 v5, vcc_lo, v7, v9, vcc_lo
	v_add_co_ci_u32_e32 v6, vcc_lo, 0, v10, vcc_lo
	s_delay_alu instid0(VALU_DEP_2) | instskip(NEXT) | instid1(VALU_DEP_2)
	v_add_co_u32 v4, vcc_lo, v5, v4
	v_add_co_ci_u32_e32 v5, vcc_lo, 0, v6, vcc_lo
	s_delay_alu instid0(VALU_DEP_2) | instskip(NEXT) | instid1(VALU_DEP_2)
	v_add_co_u32 v0, vcc_lo, v0, v4
	v_add_co_ci_u32_e32 v3, vcc_lo, v3, v5, vcc_lo
	s_delay_alu instid0(VALU_DEP_2) | instskip(SKIP_1) | instid1(VALU_DEP_3)
	v_mul_hi_u32 v4, s2, v0
	v_mul_lo_u32 v6, s11, v0
	v_mul_lo_u32 v5, s2, v3
	s_delay_alu instid0(VALU_DEP_1) | instskip(SKIP_1) | instid1(VALU_DEP_2)
	v_add_nc_u32_e32 v4, v4, v5
	v_mul_lo_u32 v5, s2, v0
	v_add_nc_u32_e32 v4, v4, v6
	s_delay_alu instid0(VALU_DEP_2) | instskip(NEXT) | instid1(VALU_DEP_2)
	v_mul_hi_u32 v6, v0, v5
	v_mul_lo_u32 v7, v0, v4
	v_mul_hi_u32 v8, v0, v4
	v_mul_hi_u32 v9, v3, v5
	v_mul_lo_u32 v5, v3, v5
	v_mul_hi_u32 v10, v3, v4
	v_mul_lo_u32 v4, v3, v4
	v_add_co_u32 v6, vcc_lo, v6, v7
	v_add_co_ci_u32_e32 v7, vcc_lo, 0, v8, vcc_lo
	s_delay_alu instid0(VALU_DEP_2) | instskip(NEXT) | instid1(VALU_DEP_2)
	v_add_co_u32 v5, vcc_lo, v6, v5
	v_add_co_ci_u32_e32 v5, vcc_lo, v7, v9, vcc_lo
	v_add_co_ci_u32_e32 v6, vcc_lo, 0, v10, vcc_lo
	s_delay_alu instid0(VALU_DEP_2) | instskip(NEXT) | instid1(VALU_DEP_2)
	v_add_co_u32 v4, vcc_lo, v5, v4
	v_add_co_ci_u32_e32 v5, vcc_lo, 0, v6, vcc_lo
	s_delay_alu instid0(VALU_DEP_2) | instskip(NEXT) | instid1(VALU_DEP_2)
	v_add_co_u32 v0, vcc_lo, v0, v4
	v_add_co_ci_u32_e32 v9, vcc_lo, v3, v5, vcc_lo
	s_delay_alu instid0(VALU_DEP_2) | instskip(SKIP_1) | instid1(VALU_DEP_3)
	v_mul_hi_u32 v10, v1, v0
	v_mad_u64_u32 v[5:6], null, v2, v0, 0
	v_mad_u64_u32 v[3:4], null, v1, v9, 0
	;; [unrolled: 1-line block ×3, first 2 shown]
	s_delay_alu instid0(VALU_DEP_2) | instskip(NEXT) | instid1(VALU_DEP_3)
	v_add_co_u32 v0, vcc_lo, v10, v3
	v_add_co_ci_u32_e32 v3, vcc_lo, 0, v4, vcc_lo
	s_delay_alu instid0(VALU_DEP_2) | instskip(NEXT) | instid1(VALU_DEP_2)
	v_add_co_u32 v0, vcc_lo, v0, v5
	v_add_co_ci_u32_e32 v0, vcc_lo, v3, v6, vcc_lo
	v_add_co_ci_u32_e32 v3, vcc_lo, 0, v8, vcc_lo
	s_delay_alu instid0(VALU_DEP_2) | instskip(NEXT) | instid1(VALU_DEP_2)
	v_add_co_u32 v0, vcc_lo, v0, v7
	v_add_co_ci_u32_e32 v5, vcc_lo, 0, v3, vcc_lo
	s_delay_alu instid0(VALU_DEP_2) | instskip(SKIP_1) | instid1(VALU_DEP_3)
	v_mul_lo_u32 v6, s17, v0
	v_mad_u64_u32 v[3:4], null, s16, v0, 0
	v_mul_lo_u32 v7, s16, v5
	s_delay_alu instid0(VALU_DEP_2) | instskip(NEXT) | instid1(VALU_DEP_2)
	v_sub_co_u32 v3, vcc_lo, v1, v3
	v_add3_u32 v4, v4, v7, v6
	s_delay_alu instid0(VALU_DEP_1) | instskip(NEXT) | instid1(VALU_DEP_1)
	v_sub_nc_u32_e32 v6, v2, v4
	v_subrev_co_ci_u32_e64 v6, s2, s17, v6, vcc_lo
	v_add_co_u32 v7, s2, v0, 2
	s_delay_alu instid0(VALU_DEP_1) | instskip(SKIP_3) | instid1(VALU_DEP_3)
	v_add_co_ci_u32_e64 v8, s2, 0, v5, s2
	v_sub_co_u32 v9, s2, v3, s16
	v_sub_co_ci_u32_e32 v2, vcc_lo, v2, v4, vcc_lo
	v_subrev_co_ci_u32_e64 v6, s2, 0, v6, s2
	v_cmp_le_u32_e32 vcc_lo, s16, v9
	s_delay_alu instid0(VALU_DEP_3) | instskip(SKIP_1) | instid1(VALU_DEP_4)
	v_cmp_eq_u32_e64 s2, s17, v2
	v_cndmask_b32_e64 v4, 0, -1, vcc_lo
	v_cmp_le_u32_e32 vcc_lo, s17, v6
	v_cndmask_b32_e64 v9, 0, -1, vcc_lo
	v_cmp_le_u32_e32 vcc_lo, s16, v3
	;; [unrolled: 2-line block ×3, first 2 shown]
	v_cndmask_b32_e64 v10, 0, -1, vcc_lo
	v_cmp_eq_u32_e32 vcc_lo, s17, v6
	s_delay_alu instid0(VALU_DEP_2) | instskip(SKIP_3) | instid1(VALU_DEP_3)
	v_cndmask_b32_e64 v2, v10, v3, s2
	v_cndmask_b32_e32 v4, v9, v4, vcc_lo
	v_add_co_u32 v6, vcc_lo, v0, 1
	v_add_co_ci_u32_e32 v9, vcc_lo, 0, v5, vcc_lo
	v_cmp_ne_u32_e32 vcc_lo, 0, v4
	s_delay_alu instid0(VALU_DEP_2) | instskip(SKIP_1) | instid1(VALU_DEP_2)
	v_dual_cndmask_b32 v3, v9, v8 :: v_dual_cndmask_b32 v6, v6, v7
	v_cmp_ne_u32_e32 vcc_lo, 0, v2
	v_dual_cndmask_b32 v4, v5, v3 :: v_dual_cndmask_b32 v3, v0, v6
.LBB13_3:
	s_and_not1_saveexec_b32 s2, s3
	s_cbranch_execz .LBB13_5
; %bb.4:
	v_cvt_f32_u32_e32 v0, s16
	s_sub_i32 s3, 0, s16
	s_delay_alu instid0(VALU_DEP_1) | instskip(SKIP_2) | instid1(VALU_DEP_1)
	v_rcp_iflag_f32_e32 v0, v0
	s_waitcnt_depctr 0xfff
	v_mul_f32_e32 v0, 0x4f7ffffe, v0
	v_cvt_u32_f32_e32 v0, v0
	s_delay_alu instid0(VALU_DEP_1) | instskip(NEXT) | instid1(VALU_DEP_1)
	v_mul_lo_u32 v2, s3, v0
	v_mul_hi_u32 v2, v0, v2
	s_delay_alu instid0(VALU_DEP_1) | instskip(NEXT) | instid1(VALU_DEP_1)
	v_add_nc_u32_e32 v0, v0, v2
	v_mul_hi_u32 v0, v1, v0
	s_delay_alu instid0(VALU_DEP_1) | instskip(SKIP_1) | instid1(VALU_DEP_2)
	v_mul_lo_u32 v2, v0, s16
	v_add_nc_u32_e32 v3, 1, v0
	v_sub_nc_u32_e32 v2, v1, v2
	s_delay_alu instid0(VALU_DEP_1) | instskip(SKIP_1) | instid1(VALU_DEP_2)
	v_subrev_nc_u32_e32 v4, s16, v2
	v_cmp_le_u32_e32 vcc_lo, s16, v2
	v_cndmask_b32_e32 v2, v2, v4, vcc_lo
	v_mov_b32_e32 v4, 0
	v_cndmask_b32_e32 v0, v0, v3, vcc_lo
	s_delay_alu instid0(VALU_DEP_3) | instskip(NEXT) | instid1(VALU_DEP_2)
	v_cmp_le_u32_e32 vcc_lo, s16, v2
	v_add_nc_u32_e32 v3, 1, v0
	s_delay_alu instid0(VALU_DEP_1)
	v_cndmask_b32_e32 v3, v0, v3, vcc_lo
.LBB13_5:
	s_or_b32 exec_lo, exec_lo, s2
	s_delay_alu instid0(VALU_DEP_1) | instskip(SKIP_1) | instid1(VALU_DEP_1)
	v_or_b32_e32 v6, s9, v4
	v_mov_b32_e32 v5, 0
	v_cmp_ne_u64_e32 vcc_lo, 0, v[5:6]
                                        ; implicit-def: $vgpr5_vgpr6
	s_and_saveexec_b32 s2, vcc_lo
	s_delay_alu instid0(SALU_CYCLE_1)
	s_xor_b32 s3, exec_lo, s2
	s_cbranch_execnz .LBB13_8
; %bb.6:
	s_and_not1_saveexec_b32 s2, s3
	s_cbranch_execnz .LBB13_9
.LBB13_7:
	s_or_b32 exec_lo, exec_lo, s2
	s_cmp_eq_u64 s[6:7], 0
	s_mov_b64 s[2:3], 0
	s_cbranch_scc0 .LBB13_10
	s_branch .LBB13_16
.LBB13_8:
	v_cvt_f32_u32_e32 v0, s8
	v_cvt_f32_u32_e32 v2, s9
	s_sub_u32 s2, 0, s8
	s_subb_u32 s11, 0, s9
	s_delay_alu instid0(VALU_DEP_1) | instskip(NEXT) | instid1(VALU_DEP_1)
	v_fmamk_f32 v0, v2, 0x4f800000, v0
	v_rcp_f32_e32 v0, v0
	s_waitcnt_depctr 0xfff
	v_mul_f32_e32 v0, 0x5f7ffffc, v0
	s_delay_alu instid0(VALU_DEP_1) | instskip(NEXT) | instid1(VALU_DEP_1)
	v_mul_f32_e32 v2, 0x2f800000, v0
	v_trunc_f32_e32 v2, v2
	s_delay_alu instid0(VALU_DEP_1) | instskip(SKIP_1) | instid1(VALU_DEP_2)
	v_fmamk_f32 v0, v2, 0xcf800000, v0
	v_cvt_u32_f32_e32 v2, v2
	v_cvt_u32_f32_e32 v0, v0
	s_delay_alu instid0(VALU_DEP_2) | instskip(NEXT) | instid1(VALU_DEP_2)
	v_mul_lo_u32 v5, s2, v2
	v_mul_hi_u32 v6, s2, v0
	v_mul_lo_u32 v7, s11, v0
	s_delay_alu instid0(VALU_DEP_2) | instskip(SKIP_1) | instid1(VALU_DEP_2)
	v_add_nc_u32_e32 v5, v6, v5
	v_mul_lo_u32 v6, s2, v0
	v_add_nc_u32_e32 v5, v5, v7
	s_delay_alu instid0(VALU_DEP_2) | instskip(NEXT) | instid1(VALU_DEP_2)
	v_mul_hi_u32 v7, v0, v6
	v_mul_lo_u32 v8, v0, v5
	v_mul_hi_u32 v9, v0, v5
	v_mul_hi_u32 v10, v2, v6
	v_mul_lo_u32 v6, v2, v6
	v_mul_hi_u32 v11, v2, v5
	v_mul_lo_u32 v5, v2, v5
	v_add_co_u32 v7, vcc_lo, v7, v8
	v_add_co_ci_u32_e32 v8, vcc_lo, 0, v9, vcc_lo
	s_delay_alu instid0(VALU_DEP_2) | instskip(NEXT) | instid1(VALU_DEP_2)
	v_add_co_u32 v6, vcc_lo, v7, v6
	v_add_co_ci_u32_e32 v6, vcc_lo, v8, v10, vcc_lo
	v_add_co_ci_u32_e32 v7, vcc_lo, 0, v11, vcc_lo
	s_delay_alu instid0(VALU_DEP_2) | instskip(NEXT) | instid1(VALU_DEP_2)
	v_add_co_u32 v5, vcc_lo, v6, v5
	v_add_co_ci_u32_e32 v6, vcc_lo, 0, v7, vcc_lo
	s_delay_alu instid0(VALU_DEP_2) | instskip(NEXT) | instid1(VALU_DEP_2)
	v_add_co_u32 v0, vcc_lo, v0, v5
	v_add_co_ci_u32_e32 v2, vcc_lo, v2, v6, vcc_lo
	s_delay_alu instid0(VALU_DEP_2) | instskip(SKIP_1) | instid1(VALU_DEP_3)
	v_mul_hi_u32 v5, s2, v0
	v_mul_lo_u32 v7, s11, v0
	v_mul_lo_u32 v6, s2, v2
	s_delay_alu instid0(VALU_DEP_1) | instskip(SKIP_1) | instid1(VALU_DEP_2)
	v_add_nc_u32_e32 v5, v5, v6
	v_mul_lo_u32 v6, s2, v0
	v_add_nc_u32_e32 v5, v5, v7
	s_delay_alu instid0(VALU_DEP_2) | instskip(NEXT) | instid1(VALU_DEP_2)
	v_mul_hi_u32 v7, v0, v6
	v_mul_lo_u32 v8, v0, v5
	v_mul_hi_u32 v9, v0, v5
	v_mul_hi_u32 v10, v2, v6
	v_mul_lo_u32 v6, v2, v6
	v_mul_hi_u32 v11, v2, v5
	v_mul_lo_u32 v5, v2, v5
	v_add_co_u32 v7, vcc_lo, v7, v8
	v_add_co_ci_u32_e32 v8, vcc_lo, 0, v9, vcc_lo
	s_delay_alu instid0(VALU_DEP_2) | instskip(NEXT) | instid1(VALU_DEP_2)
	v_add_co_u32 v6, vcc_lo, v7, v6
	v_add_co_ci_u32_e32 v6, vcc_lo, v8, v10, vcc_lo
	v_add_co_ci_u32_e32 v7, vcc_lo, 0, v11, vcc_lo
	s_delay_alu instid0(VALU_DEP_2) | instskip(NEXT) | instid1(VALU_DEP_2)
	v_add_co_u32 v5, vcc_lo, v6, v5
	v_add_co_ci_u32_e32 v6, vcc_lo, 0, v7, vcc_lo
	s_delay_alu instid0(VALU_DEP_2) | instskip(NEXT) | instid1(VALU_DEP_2)
	v_add_co_u32 v0, vcc_lo, v0, v5
	v_add_co_ci_u32_e32 v2, vcc_lo, v2, v6, vcc_lo
	s_delay_alu instid0(VALU_DEP_2) | instskip(SKIP_1) | instid1(VALU_DEP_3)
	v_mul_hi_u32 v11, v3, v0
	v_mad_u64_u32 v[7:8], null, v4, v0, 0
	v_mad_u64_u32 v[5:6], null, v3, v2, 0
	;; [unrolled: 1-line block ×3, first 2 shown]
	s_delay_alu instid0(VALU_DEP_2) | instskip(NEXT) | instid1(VALU_DEP_3)
	v_add_co_u32 v0, vcc_lo, v11, v5
	v_add_co_ci_u32_e32 v2, vcc_lo, 0, v6, vcc_lo
	s_delay_alu instid0(VALU_DEP_2) | instskip(NEXT) | instid1(VALU_DEP_2)
	v_add_co_u32 v0, vcc_lo, v0, v7
	v_add_co_ci_u32_e32 v0, vcc_lo, v2, v8, vcc_lo
	v_add_co_ci_u32_e32 v2, vcc_lo, 0, v10, vcc_lo
	s_delay_alu instid0(VALU_DEP_2) | instskip(NEXT) | instid1(VALU_DEP_2)
	v_add_co_u32 v0, vcc_lo, v0, v9
	v_add_co_ci_u32_e32 v2, vcc_lo, 0, v2, vcc_lo
	s_delay_alu instid0(VALU_DEP_2) | instskip(SKIP_1) | instid1(VALU_DEP_3)
	v_mul_lo_u32 v7, s9, v0
	v_mad_u64_u32 v[5:6], null, s8, v0, 0
	v_mul_lo_u32 v0, s8, v2
	s_delay_alu instid0(VALU_DEP_2) | instskip(NEXT) | instid1(VALU_DEP_2)
	v_sub_co_u32 v5, vcc_lo, v3, v5
	v_add3_u32 v0, v6, v0, v7
	s_delay_alu instid0(VALU_DEP_1) | instskip(NEXT) | instid1(VALU_DEP_1)
	v_sub_nc_u32_e32 v2, v4, v0
	v_subrev_co_ci_u32_e64 v2, s2, s9, v2, vcc_lo
	s_delay_alu instid0(VALU_DEP_4) | instskip(SKIP_1) | instid1(VALU_DEP_3)
	v_sub_co_u32 v6, s2, v5, s8
	v_sub_co_ci_u32_e32 v0, vcc_lo, v4, v0, vcc_lo
	v_subrev_co_ci_u32_e64 v2, s2, 0, v2, s2
	s_delay_alu instid0(VALU_DEP_3) | instskip(SKIP_1) | instid1(VALU_DEP_3)
	v_cmp_le_u32_e32 vcc_lo, s8, v6
	v_cndmask_b32_e64 v4, 0, -1, vcc_lo
	v_cmp_le_u32_e32 vcc_lo, s9, v2
	v_cndmask_b32_e64 v7, 0, -1, vcc_lo
	;; [unrolled: 2-line block ×4, first 2 shown]
	v_cmp_eq_u32_e32 vcc_lo, s9, v2
	v_cndmask_b32_e32 v2, v7, v4, vcc_lo
	v_sub_co_u32 v4, vcc_lo, v6, s8
	v_cmp_eq_u32_e32 vcc_lo, s9, v0
	v_cndmask_b32_e32 v0, v9, v8, vcc_lo
	s_delay_alu instid0(VALU_DEP_4) | instskip(NEXT) | instid1(VALU_DEP_4)
	v_cmp_ne_u32_e32 vcc_lo, 0, v2
	v_cndmask_b32_e32 v2, v6, v4, vcc_lo
	s_delay_alu instid0(VALU_DEP_3) | instskip(NEXT) | instid1(VALU_DEP_2)
	v_cmp_ne_u32_e32 vcc_lo, 0, v0
	v_cndmask_b32_e32 v5, v5, v2, vcc_lo
	s_and_not1_saveexec_b32 s2, s3
	s_cbranch_execz .LBB13_7
.LBB13_9:
	v_cvt_f32_u32_e32 v0, s8
	s_sub_i32 s3, 0, s8
	s_delay_alu instid0(VALU_DEP_1) | instskip(SKIP_2) | instid1(VALU_DEP_1)
	v_rcp_iflag_f32_e32 v0, v0
	s_waitcnt_depctr 0xfff
	v_mul_f32_e32 v0, 0x4f7ffffe, v0
	v_cvt_u32_f32_e32 v0, v0
	s_delay_alu instid0(VALU_DEP_1) | instskip(NEXT) | instid1(VALU_DEP_1)
	v_mul_lo_u32 v2, s3, v0
	v_mul_hi_u32 v2, v0, v2
	s_delay_alu instid0(VALU_DEP_1) | instskip(NEXT) | instid1(VALU_DEP_1)
	v_add_nc_u32_e32 v0, v0, v2
	v_mul_hi_u32 v0, v3, v0
	s_delay_alu instid0(VALU_DEP_1) | instskip(NEXT) | instid1(VALU_DEP_1)
	v_mul_lo_u32 v0, v0, s8
	v_sub_nc_u32_e32 v0, v3, v0
	s_delay_alu instid0(VALU_DEP_1) | instskip(SKIP_1) | instid1(VALU_DEP_2)
	v_subrev_nc_u32_e32 v2, s8, v0
	v_cmp_le_u32_e32 vcc_lo, s8, v0
	v_cndmask_b32_e32 v0, v0, v2, vcc_lo
	s_delay_alu instid0(VALU_DEP_1) | instskip(SKIP_1) | instid1(VALU_DEP_2)
	v_subrev_nc_u32_e32 v2, s8, v0
	v_cmp_le_u32_e32 vcc_lo, s8, v0
	v_cndmask_b32_e32 v5, v0, v2, vcc_lo
	s_or_b32 exec_lo, exec_lo, s2
	s_cmp_eq_u64 s[6:7], 0
	s_mov_b64 s[2:3], 0
	s_cbranch_scc1 .LBB13_16
.LBB13_10:
	v_mul_lo_u32 v0, v3, s16
	s_load_b32 s0, s[0:1], 0x30
	s_delay_alu instid0(VALU_DEP_1) | instskip(NEXT) | instid1(VALU_DEP_1)
	v_sub_nc_u32_e32 v0, v1, v0
	v_add_nc_u32_e32 v2, 1, v0
	v_cvt_f32_i32_e32 v0, v0
	s_delay_alu instid0(VALU_DEP_2) | instskip(SKIP_1) | instid1(VALU_DEP_2)
	v_cvt_f32_i32_e32 v2, v2
	s_waitcnt lgkmcnt(0)
	v_mul_f32_e32 v0, s0, v0
	s_delay_alu instid0(VALU_DEP_2) | instskip(NEXT) | instid1(VALU_DEP_2)
	v_mul_f32_e32 v2, s0, v2
	v_ceil_f32_e32 v0, v0
	s_delay_alu instid0(VALU_DEP_2) | instskip(NEXT) | instid1(VALU_DEP_2)
	v_ceil_f32_e32 v2, v2
	v_cvt_i32_f32_e32 v3, v0
	s_delay_alu instid0(VALU_DEP_2) | instskip(NEXT) | instid1(VALU_DEP_2)
	v_cvt_i32_f32_e32 v2, v2
	v_min_i32_e32 v0, s10, v3
	s_delay_alu instid0(VALU_DEP_2) | instskip(NEXT) | instid1(VALU_DEP_1)
	v_min_i32_e32 v4, s10, v2
	v_cmp_gt_i32_e64 s0, v4, v3
	s_branch .LBB13_12
.LBB13_11:                              ;   in Loop: Header=BB13_12 Depth=1
	s_or_b32 exec_lo, exec_lo, s1
	s_delay_alu instid0(VALU_DEP_1) | instskip(SKIP_3) | instid1(SALU_CYCLE_1)
	v_bfe_u32 v3, v6, 16, 1
	v_ashrrev_i32_e32 v2, 31, v1
	s_add_u32 s2, s2, 1
	s_addc_u32 s3, s3, 0
	v_cmp_ge_u64_e64 s1, s[2:3], s[6:7]
	v_add3_u32 v7, v6, v3, 0x7fff
	v_lshlrev_b64 v[2:3], 1, v[1:2]
	v_add_nc_u32_e32 v1, s12, v1
	s_delay_alu instid0(VALU_DEP_3) | instskip(NEXT) | instid1(VALU_DEP_3)
	v_lshrrev_b32_e32 v7, 16, v7
	v_add_co_u32 v2, vcc_lo, s18, v2
	s_delay_alu instid0(VALU_DEP_4) | instskip(SKIP_1) | instid1(VALU_DEP_4)
	v_add_co_ci_u32_e32 v3, vcc_lo, s19, v3, vcc_lo
	v_cmp_o_f32_e32 vcc_lo, v6, v6
	v_cndmask_b32_e32 v6, 0x7fc0, v7, vcc_lo
	s_and_b32 vcc_lo, exec_lo, s1
	global_store_b16 v[2:3], v6, off
	s_cbranch_vccnz .LBB13_16
.LBB13_12:                              ; =>This Loop Header: Depth=1
                                        ;     Child Loop BB13_14 Depth 2
	v_mov_b32_e32 v6, 0
	s_delay_alu instid0(VALU_DEP_2)
	s_and_saveexec_b32 s1, s0
	s_cbranch_execz .LBB13_11
; %bb.13:                               ;   in Loop: Header=BB13_12 Depth=1
	s_delay_alu instid0(VALU_DEP_1) | instskip(SKIP_2) | instid1(VALU_DEP_2)
	v_mad_u64_u32 v[6:7], null, s2, s8, v[5:6]
	s_mov_b32 s9, 0
	v_mov_b32_e32 v7, v0
	v_mad_u64_u32 v[2:3], null, v6, s10, v[0:1]
	v_mov_b32_e32 v6, 0
.LBB13_14:                              ;   Parent Loop BB13_12 Depth=1
                                        ; =>  This Inner Loop Header: Depth=2
	s_delay_alu instid0(VALU_DEP_2) | instskip(NEXT) | instid1(VALU_DEP_4)
	v_ashrrev_i32_e32 v3, 31, v2
	v_add_nc_u32_e32 v7, 1, v7
	s_delay_alu instid0(VALU_DEP_2) | instskip(SKIP_1) | instid1(VALU_DEP_2)
	v_lshlrev_b64 v[8:9], 1, v[2:3]
	v_add_nc_u32_e32 v2, 1, v2
	v_add_co_u32 v8, vcc_lo, s4, v8
	s_delay_alu instid0(VALU_DEP_3)
	v_add_co_ci_u32_e32 v9, vcc_lo, s5, v9, vcc_lo
	v_cmp_ge_i32_e32 vcc_lo, v7, v4
	global_load_u16 v3, v[8:9], off
	s_or_b32 s9, vcc_lo, s9
	s_waitcnt vmcnt(0)
	v_lshlrev_b32_e32 v3, 16, v3
	s_delay_alu instid0(VALU_DEP_1)
	v_add_f32_e32 v6, v6, v3
	s_and_not1_b32 exec_lo, exec_lo, s9
	s_cbranch_execnz .LBB13_14
; %bb.15:                               ;   in Loop: Header=BB13_12 Depth=1
	s_or_b32 exec_lo, exec_lo, s9
	s_branch .LBB13_11
.LBB13_16:
	s_nop 0
	s_sendmsg sendmsg(MSG_DEALLOC_VGPRS)
	s_endpgm
	.section	.rodata,"a",@progbits
	.p2align	6, 0x0
	.amdhsa_kernel _ZN2at6native12_GLOBAL__N_137upsample_nearest1d_backward_out_frameIN3c108BFloat16EfXadL_ZNS0_40nearest_neighbor_bw_compute_source_indexEfiiEEEEvPKT_mmmmPS5_f
		.amdhsa_group_segment_fixed_size 0
		.amdhsa_private_segment_fixed_size 0
		.amdhsa_kernarg_size 312
		.amdhsa_user_sgpr_count 15
		.amdhsa_user_sgpr_dispatch_ptr 0
		.amdhsa_user_sgpr_queue_ptr 0
		.amdhsa_user_sgpr_kernarg_segment_ptr 1
		.amdhsa_user_sgpr_dispatch_id 0
		.amdhsa_user_sgpr_private_segment_size 0
		.amdhsa_wavefront_size32 1
		.amdhsa_uses_dynamic_stack 0
		.amdhsa_enable_private_segment 0
		.amdhsa_system_sgpr_workgroup_id_x 1
		.amdhsa_system_sgpr_workgroup_id_y 0
		.amdhsa_system_sgpr_workgroup_id_z 0
		.amdhsa_system_sgpr_workgroup_info 0
		.amdhsa_system_vgpr_workitem_id 0
		.amdhsa_next_free_vgpr 12
		.amdhsa_next_free_sgpr 20
		.amdhsa_reserve_vcc 1
		.amdhsa_float_round_mode_32 0
		.amdhsa_float_round_mode_16_64 0
		.amdhsa_float_denorm_mode_32 3
		.amdhsa_float_denorm_mode_16_64 3
		.amdhsa_dx10_clamp 1
		.amdhsa_ieee_mode 1
		.amdhsa_fp16_overflow 0
		.amdhsa_workgroup_processor_mode 1
		.amdhsa_memory_ordered 1
		.amdhsa_forward_progress 0
		.amdhsa_shared_vgpr_count 0
		.amdhsa_exception_fp_ieee_invalid_op 0
		.amdhsa_exception_fp_denorm_src 0
		.amdhsa_exception_fp_ieee_div_zero 0
		.amdhsa_exception_fp_ieee_overflow 0
		.amdhsa_exception_fp_ieee_underflow 0
		.amdhsa_exception_fp_ieee_inexact 0
		.amdhsa_exception_int_div_zero 0
	.end_amdhsa_kernel
	.section	.text._ZN2at6native12_GLOBAL__N_137upsample_nearest1d_backward_out_frameIN3c108BFloat16EfXadL_ZNS0_40nearest_neighbor_bw_compute_source_indexEfiiEEEEvPKT_mmmmPS5_f,"axG",@progbits,_ZN2at6native12_GLOBAL__N_137upsample_nearest1d_backward_out_frameIN3c108BFloat16EfXadL_ZNS0_40nearest_neighbor_bw_compute_source_indexEfiiEEEEvPKT_mmmmPS5_f,comdat
.Lfunc_end13:
	.size	_ZN2at6native12_GLOBAL__N_137upsample_nearest1d_backward_out_frameIN3c108BFloat16EfXadL_ZNS0_40nearest_neighbor_bw_compute_source_indexEfiiEEEEvPKT_mmmmPS5_f, .Lfunc_end13-_ZN2at6native12_GLOBAL__N_137upsample_nearest1d_backward_out_frameIN3c108BFloat16EfXadL_ZNS0_40nearest_neighbor_bw_compute_source_indexEfiiEEEEvPKT_mmmmPS5_f
                                        ; -- End function
	.section	.AMDGPU.csdata,"",@progbits
; Kernel info:
; codeLenInByte = 2280
; NumSgprs: 22
; NumVgprs: 12
; ScratchSize: 0
; MemoryBound: 0
; FloatMode: 240
; IeeeMode: 1
; LDSByteSize: 0 bytes/workgroup (compile time only)
; SGPRBlocks: 2
; VGPRBlocks: 1
; NumSGPRsForWavesPerEU: 22
; NumVGPRsForWavesPerEU: 12
; Occupancy: 16
; WaveLimiterHint : 0
; COMPUTE_PGM_RSRC2:SCRATCH_EN: 0
; COMPUTE_PGM_RSRC2:USER_SGPR: 15
; COMPUTE_PGM_RSRC2:TRAP_HANDLER: 0
; COMPUTE_PGM_RSRC2:TGID_X_EN: 1
; COMPUTE_PGM_RSRC2:TGID_Y_EN: 0
; COMPUTE_PGM_RSRC2:TGID_Z_EN: 0
; COMPUTE_PGM_RSRC2:TIDIG_COMP_CNT: 0
	.section	.text._ZN2at6native12_GLOBAL__N_137upsample_nearest1d_backward_out_frameIhlXadL_ZNS0_40nearest_neighbor_bw_compute_source_indexEfiiEEEEvPKT_mmmmPS3_f,"axG",@progbits,_ZN2at6native12_GLOBAL__N_137upsample_nearest1d_backward_out_frameIhlXadL_ZNS0_40nearest_neighbor_bw_compute_source_indexEfiiEEEEvPKT_mmmmPS3_f,comdat
	.globl	_ZN2at6native12_GLOBAL__N_137upsample_nearest1d_backward_out_frameIhlXadL_ZNS0_40nearest_neighbor_bw_compute_source_indexEfiiEEEEvPKT_mmmmPS3_f ; -- Begin function _ZN2at6native12_GLOBAL__N_137upsample_nearest1d_backward_out_frameIhlXadL_ZNS0_40nearest_neighbor_bw_compute_source_indexEfiiEEEEvPKT_mmmmPS3_f
	.p2align	8
	.type	_ZN2at6native12_GLOBAL__N_137upsample_nearest1d_backward_out_frameIhlXadL_ZNS0_40nearest_neighbor_bw_compute_source_indexEfiiEEEEvPKT_mmmmPS3_f,@function
_ZN2at6native12_GLOBAL__N_137upsample_nearest1d_backward_out_frameIhlXadL_ZNS0_40nearest_neighbor_bw_compute_source_indexEfiiEEEEvPKT_mmmmPS3_f: ; @_ZN2at6native12_GLOBAL__N_137upsample_nearest1d_backward_out_frameIhlXadL_ZNS0_40nearest_neighbor_bw_compute_source_indexEfiiEEEEvPKT_mmmmPS3_f
; %bb.0:
	s_clause 0x2
	s_load_b32 s2, s[0:1], 0x44
	s_load_b128 s[16:19], s[0:1], 0x20
	s_load_b256 s[4:11], s[0:1], 0x0
	s_waitcnt lgkmcnt(0)
	s_and_b32 s2, s2, 0xffff
	s_delay_alu instid0(SALU_CYCLE_1)
	v_mad_u64_u32 v[1:2], null, s15, s2, v[0:1]
	s_mul_i32 s2, s16, s9
	s_mul_hi_u32 s3, s16, s8
	s_mul_i32 s12, s16, s8
	s_add_i32 s2, s3, s2
	s_mul_i32 s3, s17, s8
	s_delay_alu instid0(SALU_CYCLE_1) | instskip(NEXT) | instid1(VALU_DEP_1)
	s_add_i32 s13, s2, s3
	v_ashrrev_i32_e32 v2, 31, v1
	s_mov_b32 s2, exec_lo
	s_delay_alu instid0(VALU_DEP_1)
	v_cmpx_gt_u64_e64 s[12:13], v[1:2]
	s_cbranch_execz .LBB14_16
; %bb.1:
	v_or_b32_e32 v4, s17, v2
	v_mov_b32_e32 v3, 0
	s_delay_alu instid0(VALU_DEP_1) | instskip(SKIP_1) | instid1(SALU_CYCLE_1)
	v_cmp_ne_u64_e32 vcc_lo, 0, v[3:4]
                                        ; implicit-def: $vgpr3_vgpr4
	s_and_saveexec_b32 s2, vcc_lo
	s_xor_b32 s3, exec_lo, s2
	s_cbranch_execz .LBB14_3
; %bb.2:
	v_cvt_f32_u32_e32 v0, s16
	v_cvt_f32_u32_e32 v3, s17
	s_sub_u32 s2, 0, s16
	s_subb_u32 s11, 0, s17
	s_delay_alu instid0(VALU_DEP_1) | instskip(NEXT) | instid1(VALU_DEP_1)
	v_fmamk_f32 v0, v3, 0x4f800000, v0
	v_rcp_f32_e32 v0, v0
	s_waitcnt_depctr 0xfff
	v_mul_f32_e32 v0, 0x5f7ffffc, v0
	s_delay_alu instid0(VALU_DEP_1) | instskip(NEXT) | instid1(VALU_DEP_1)
	v_mul_f32_e32 v3, 0x2f800000, v0
	v_trunc_f32_e32 v3, v3
	s_delay_alu instid0(VALU_DEP_1) | instskip(SKIP_1) | instid1(VALU_DEP_2)
	v_fmamk_f32 v0, v3, 0xcf800000, v0
	v_cvt_u32_f32_e32 v3, v3
	v_cvt_u32_f32_e32 v0, v0
	s_delay_alu instid0(VALU_DEP_2) | instskip(NEXT) | instid1(VALU_DEP_2)
	v_mul_lo_u32 v4, s2, v3
	v_mul_hi_u32 v5, s2, v0
	v_mul_lo_u32 v6, s11, v0
	s_delay_alu instid0(VALU_DEP_2) | instskip(SKIP_1) | instid1(VALU_DEP_2)
	v_add_nc_u32_e32 v4, v5, v4
	v_mul_lo_u32 v5, s2, v0
	v_add_nc_u32_e32 v4, v4, v6
	s_delay_alu instid0(VALU_DEP_2) | instskip(NEXT) | instid1(VALU_DEP_2)
	v_mul_hi_u32 v6, v0, v5
	v_mul_lo_u32 v7, v0, v4
	v_mul_hi_u32 v8, v0, v4
	v_mul_hi_u32 v9, v3, v5
	v_mul_lo_u32 v5, v3, v5
	v_mul_hi_u32 v10, v3, v4
	v_mul_lo_u32 v4, v3, v4
	v_add_co_u32 v6, vcc_lo, v6, v7
	v_add_co_ci_u32_e32 v7, vcc_lo, 0, v8, vcc_lo
	s_delay_alu instid0(VALU_DEP_2) | instskip(NEXT) | instid1(VALU_DEP_2)
	v_add_co_u32 v5, vcc_lo, v6, v5
	v_add_co_ci_u32_e32 v5, vcc_lo, v7, v9, vcc_lo
	v_add_co_ci_u32_e32 v6, vcc_lo, 0, v10, vcc_lo
	s_delay_alu instid0(VALU_DEP_2) | instskip(NEXT) | instid1(VALU_DEP_2)
	v_add_co_u32 v4, vcc_lo, v5, v4
	v_add_co_ci_u32_e32 v5, vcc_lo, 0, v6, vcc_lo
	s_delay_alu instid0(VALU_DEP_2) | instskip(NEXT) | instid1(VALU_DEP_2)
	v_add_co_u32 v0, vcc_lo, v0, v4
	v_add_co_ci_u32_e32 v3, vcc_lo, v3, v5, vcc_lo
	s_delay_alu instid0(VALU_DEP_2) | instskip(SKIP_1) | instid1(VALU_DEP_3)
	v_mul_hi_u32 v4, s2, v0
	v_mul_lo_u32 v6, s11, v0
	v_mul_lo_u32 v5, s2, v3
	s_delay_alu instid0(VALU_DEP_1) | instskip(SKIP_1) | instid1(VALU_DEP_2)
	v_add_nc_u32_e32 v4, v4, v5
	v_mul_lo_u32 v5, s2, v0
	v_add_nc_u32_e32 v4, v4, v6
	s_delay_alu instid0(VALU_DEP_2) | instskip(NEXT) | instid1(VALU_DEP_2)
	v_mul_hi_u32 v6, v0, v5
	v_mul_lo_u32 v7, v0, v4
	v_mul_hi_u32 v8, v0, v4
	v_mul_hi_u32 v9, v3, v5
	v_mul_lo_u32 v5, v3, v5
	v_mul_hi_u32 v10, v3, v4
	v_mul_lo_u32 v4, v3, v4
	v_add_co_u32 v6, vcc_lo, v6, v7
	v_add_co_ci_u32_e32 v7, vcc_lo, 0, v8, vcc_lo
	s_delay_alu instid0(VALU_DEP_2) | instskip(NEXT) | instid1(VALU_DEP_2)
	v_add_co_u32 v5, vcc_lo, v6, v5
	v_add_co_ci_u32_e32 v5, vcc_lo, v7, v9, vcc_lo
	v_add_co_ci_u32_e32 v6, vcc_lo, 0, v10, vcc_lo
	s_delay_alu instid0(VALU_DEP_2) | instskip(NEXT) | instid1(VALU_DEP_2)
	v_add_co_u32 v4, vcc_lo, v5, v4
	v_add_co_ci_u32_e32 v5, vcc_lo, 0, v6, vcc_lo
	s_delay_alu instid0(VALU_DEP_2) | instskip(NEXT) | instid1(VALU_DEP_2)
	v_add_co_u32 v0, vcc_lo, v0, v4
	v_add_co_ci_u32_e32 v9, vcc_lo, v3, v5, vcc_lo
	s_delay_alu instid0(VALU_DEP_2) | instskip(SKIP_1) | instid1(VALU_DEP_3)
	v_mul_hi_u32 v10, v1, v0
	v_mad_u64_u32 v[5:6], null, v2, v0, 0
	v_mad_u64_u32 v[3:4], null, v1, v9, 0
	;; [unrolled: 1-line block ×3, first 2 shown]
	s_delay_alu instid0(VALU_DEP_2) | instskip(NEXT) | instid1(VALU_DEP_3)
	v_add_co_u32 v0, vcc_lo, v10, v3
	v_add_co_ci_u32_e32 v3, vcc_lo, 0, v4, vcc_lo
	s_delay_alu instid0(VALU_DEP_2) | instskip(NEXT) | instid1(VALU_DEP_2)
	v_add_co_u32 v0, vcc_lo, v0, v5
	v_add_co_ci_u32_e32 v0, vcc_lo, v3, v6, vcc_lo
	v_add_co_ci_u32_e32 v3, vcc_lo, 0, v8, vcc_lo
	s_delay_alu instid0(VALU_DEP_2) | instskip(NEXT) | instid1(VALU_DEP_2)
	v_add_co_u32 v0, vcc_lo, v0, v7
	v_add_co_ci_u32_e32 v5, vcc_lo, 0, v3, vcc_lo
	s_delay_alu instid0(VALU_DEP_2) | instskip(SKIP_1) | instid1(VALU_DEP_3)
	v_mul_lo_u32 v6, s17, v0
	v_mad_u64_u32 v[3:4], null, s16, v0, 0
	v_mul_lo_u32 v7, s16, v5
	s_delay_alu instid0(VALU_DEP_2) | instskip(NEXT) | instid1(VALU_DEP_2)
	v_sub_co_u32 v3, vcc_lo, v1, v3
	v_add3_u32 v4, v4, v7, v6
	s_delay_alu instid0(VALU_DEP_1) | instskip(NEXT) | instid1(VALU_DEP_1)
	v_sub_nc_u32_e32 v6, v2, v4
	v_subrev_co_ci_u32_e64 v6, s2, s17, v6, vcc_lo
	v_add_co_u32 v7, s2, v0, 2
	s_delay_alu instid0(VALU_DEP_1) | instskip(SKIP_3) | instid1(VALU_DEP_3)
	v_add_co_ci_u32_e64 v8, s2, 0, v5, s2
	v_sub_co_u32 v9, s2, v3, s16
	v_sub_co_ci_u32_e32 v2, vcc_lo, v2, v4, vcc_lo
	v_subrev_co_ci_u32_e64 v6, s2, 0, v6, s2
	v_cmp_le_u32_e32 vcc_lo, s16, v9
	s_delay_alu instid0(VALU_DEP_3) | instskip(SKIP_1) | instid1(VALU_DEP_4)
	v_cmp_eq_u32_e64 s2, s17, v2
	v_cndmask_b32_e64 v4, 0, -1, vcc_lo
	v_cmp_le_u32_e32 vcc_lo, s17, v6
	v_cndmask_b32_e64 v9, 0, -1, vcc_lo
	v_cmp_le_u32_e32 vcc_lo, s16, v3
	v_cndmask_b32_e64 v3, 0, -1, vcc_lo
	v_cmp_le_u32_e32 vcc_lo, s17, v2
	v_cndmask_b32_e64 v10, 0, -1, vcc_lo
	v_cmp_eq_u32_e32 vcc_lo, s17, v6
	s_delay_alu instid0(VALU_DEP_2) | instskip(SKIP_3) | instid1(VALU_DEP_3)
	v_cndmask_b32_e64 v2, v10, v3, s2
	v_cndmask_b32_e32 v4, v9, v4, vcc_lo
	v_add_co_u32 v6, vcc_lo, v0, 1
	v_add_co_ci_u32_e32 v9, vcc_lo, 0, v5, vcc_lo
	v_cmp_ne_u32_e32 vcc_lo, 0, v4
	s_delay_alu instid0(VALU_DEP_2) | instskip(SKIP_1) | instid1(VALU_DEP_2)
	v_dual_cndmask_b32 v3, v9, v8 :: v_dual_cndmask_b32 v6, v6, v7
	v_cmp_ne_u32_e32 vcc_lo, 0, v2
	v_dual_cndmask_b32 v4, v5, v3 :: v_dual_cndmask_b32 v3, v0, v6
.LBB14_3:
	s_and_not1_saveexec_b32 s2, s3
	s_cbranch_execz .LBB14_5
; %bb.4:
	v_cvt_f32_u32_e32 v0, s16
	s_sub_i32 s3, 0, s16
	s_delay_alu instid0(VALU_DEP_1) | instskip(SKIP_2) | instid1(VALU_DEP_1)
	v_rcp_iflag_f32_e32 v0, v0
	s_waitcnt_depctr 0xfff
	v_mul_f32_e32 v0, 0x4f7ffffe, v0
	v_cvt_u32_f32_e32 v0, v0
	s_delay_alu instid0(VALU_DEP_1) | instskip(NEXT) | instid1(VALU_DEP_1)
	v_mul_lo_u32 v2, s3, v0
	v_mul_hi_u32 v2, v0, v2
	s_delay_alu instid0(VALU_DEP_1) | instskip(NEXT) | instid1(VALU_DEP_1)
	v_add_nc_u32_e32 v0, v0, v2
	v_mul_hi_u32 v0, v1, v0
	s_delay_alu instid0(VALU_DEP_1) | instskip(SKIP_1) | instid1(VALU_DEP_2)
	v_mul_lo_u32 v2, v0, s16
	v_add_nc_u32_e32 v3, 1, v0
	v_sub_nc_u32_e32 v2, v1, v2
	s_delay_alu instid0(VALU_DEP_1) | instskip(SKIP_1) | instid1(VALU_DEP_2)
	v_subrev_nc_u32_e32 v4, s16, v2
	v_cmp_le_u32_e32 vcc_lo, s16, v2
	v_cndmask_b32_e32 v2, v2, v4, vcc_lo
	v_mov_b32_e32 v4, 0
	v_cndmask_b32_e32 v0, v0, v3, vcc_lo
	s_delay_alu instid0(VALU_DEP_3) | instskip(NEXT) | instid1(VALU_DEP_2)
	v_cmp_le_u32_e32 vcc_lo, s16, v2
	v_add_nc_u32_e32 v3, 1, v0
	s_delay_alu instid0(VALU_DEP_1)
	v_cndmask_b32_e32 v3, v0, v3, vcc_lo
.LBB14_5:
	s_or_b32 exec_lo, exec_lo, s2
	s_delay_alu instid0(VALU_DEP_1) | instskip(SKIP_1) | instid1(VALU_DEP_1)
	v_or_b32_e32 v6, s9, v4
	v_mov_b32_e32 v5, 0
	v_cmp_ne_u64_e32 vcc_lo, 0, v[5:6]
                                        ; implicit-def: $vgpr5_vgpr6
	s_and_saveexec_b32 s2, vcc_lo
	s_delay_alu instid0(SALU_CYCLE_1)
	s_xor_b32 s3, exec_lo, s2
	s_cbranch_execnz .LBB14_8
; %bb.6:
	s_and_not1_saveexec_b32 s2, s3
	s_cbranch_execnz .LBB14_9
.LBB14_7:
	s_or_b32 exec_lo, exec_lo, s2
	s_cmp_eq_u64 s[6:7], 0
	s_mov_b64 s[2:3], 0
	s_cbranch_scc0 .LBB14_10
	s_branch .LBB14_16
.LBB14_8:
	v_cvt_f32_u32_e32 v0, s8
	v_cvt_f32_u32_e32 v2, s9
	s_sub_u32 s2, 0, s8
	s_subb_u32 s11, 0, s9
	s_delay_alu instid0(VALU_DEP_1) | instskip(NEXT) | instid1(VALU_DEP_1)
	v_fmamk_f32 v0, v2, 0x4f800000, v0
	v_rcp_f32_e32 v0, v0
	s_waitcnt_depctr 0xfff
	v_mul_f32_e32 v0, 0x5f7ffffc, v0
	s_delay_alu instid0(VALU_DEP_1) | instskip(NEXT) | instid1(VALU_DEP_1)
	v_mul_f32_e32 v2, 0x2f800000, v0
	v_trunc_f32_e32 v2, v2
	s_delay_alu instid0(VALU_DEP_1) | instskip(SKIP_1) | instid1(VALU_DEP_2)
	v_fmamk_f32 v0, v2, 0xcf800000, v0
	v_cvt_u32_f32_e32 v2, v2
	v_cvt_u32_f32_e32 v0, v0
	s_delay_alu instid0(VALU_DEP_2) | instskip(NEXT) | instid1(VALU_DEP_2)
	v_mul_lo_u32 v5, s2, v2
	v_mul_hi_u32 v6, s2, v0
	v_mul_lo_u32 v7, s11, v0
	s_delay_alu instid0(VALU_DEP_2) | instskip(SKIP_1) | instid1(VALU_DEP_2)
	v_add_nc_u32_e32 v5, v6, v5
	v_mul_lo_u32 v6, s2, v0
	v_add_nc_u32_e32 v5, v5, v7
	s_delay_alu instid0(VALU_DEP_2) | instskip(NEXT) | instid1(VALU_DEP_2)
	v_mul_hi_u32 v7, v0, v6
	v_mul_lo_u32 v8, v0, v5
	v_mul_hi_u32 v9, v0, v5
	v_mul_hi_u32 v10, v2, v6
	v_mul_lo_u32 v6, v2, v6
	v_mul_hi_u32 v11, v2, v5
	v_mul_lo_u32 v5, v2, v5
	v_add_co_u32 v7, vcc_lo, v7, v8
	v_add_co_ci_u32_e32 v8, vcc_lo, 0, v9, vcc_lo
	s_delay_alu instid0(VALU_DEP_2) | instskip(NEXT) | instid1(VALU_DEP_2)
	v_add_co_u32 v6, vcc_lo, v7, v6
	v_add_co_ci_u32_e32 v6, vcc_lo, v8, v10, vcc_lo
	v_add_co_ci_u32_e32 v7, vcc_lo, 0, v11, vcc_lo
	s_delay_alu instid0(VALU_DEP_2) | instskip(NEXT) | instid1(VALU_DEP_2)
	v_add_co_u32 v5, vcc_lo, v6, v5
	v_add_co_ci_u32_e32 v6, vcc_lo, 0, v7, vcc_lo
	s_delay_alu instid0(VALU_DEP_2) | instskip(NEXT) | instid1(VALU_DEP_2)
	v_add_co_u32 v0, vcc_lo, v0, v5
	v_add_co_ci_u32_e32 v2, vcc_lo, v2, v6, vcc_lo
	s_delay_alu instid0(VALU_DEP_2) | instskip(SKIP_1) | instid1(VALU_DEP_3)
	v_mul_hi_u32 v5, s2, v0
	v_mul_lo_u32 v7, s11, v0
	v_mul_lo_u32 v6, s2, v2
	s_delay_alu instid0(VALU_DEP_1) | instskip(SKIP_1) | instid1(VALU_DEP_2)
	v_add_nc_u32_e32 v5, v5, v6
	v_mul_lo_u32 v6, s2, v0
	v_add_nc_u32_e32 v5, v5, v7
	s_delay_alu instid0(VALU_DEP_2) | instskip(NEXT) | instid1(VALU_DEP_2)
	v_mul_hi_u32 v7, v0, v6
	v_mul_lo_u32 v8, v0, v5
	v_mul_hi_u32 v9, v0, v5
	v_mul_hi_u32 v10, v2, v6
	v_mul_lo_u32 v6, v2, v6
	v_mul_hi_u32 v11, v2, v5
	v_mul_lo_u32 v5, v2, v5
	v_add_co_u32 v7, vcc_lo, v7, v8
	v_add_co_ci_u32_e32 v8, vcc_lo, 0, v9, vcc_lo
	s_delay_alu instid0(VALU_DEP_2) | instskip(NEXT) | instid1(VALU_DEP_2)
	v_add_co_u32 v6, vcc_lo, v7, v6
	v_add_co_ci_u32_e32 v6, vcc_lo, v8, v10, vcc_lo
	v_add_co_ci_u32_e32 v7, vcc_lo, 0, v11, vcc_lo
	s_delay_alu instid0(VALU_DEP_2) | instskip(NEXT) | instid1(VALU_DEP_2)
	v_add_co_u32 v5, vcc_lo, v6, v5
	v_add_co_ci_u32_e32 v6, vcc_lo, 0, v7, vcc_lo
	s_delay_alu instid0(VALU_DEP_2) | instskip(NEXT) | instid1(VALU_DEP_2)
	v_add_co_u32 v0, vcc_lo, v0, v5
	v_add_co_ci_u32_e32 v2, vcc_lo, v2, v6, vcc_lo
	s_delay_alu instid0(VALU_DEP_2) | instskip(SKIP_1) | instid1(VALU_DEP_3)
	v_mul_hi_u32 v11, v3, v0
	v_mad_u64_u32 v[7:8], null, v4, v0, 0
	v_mad_u64_u32 v[5:6], null, v3, v2, 0
	;; [unrolled: 1-line block ×3, first 2 shown]
	s_delay_alu instid0(VALU_DEP_2) | instskip(NEXT) | instid1(VALU_DEP_3)
	v_add_co_u32 v0, vcc_lo, v11, v5
	v_add_co_ci_u32_e32 v2, vcc_lo, 0, v6, vcc_lo
	s_delay_alu instid0(VALU_DEP_2) | instskip(NEXT) | instid1(VALU_DEP_2)
	v_add_co_u32 v0, vcc_lo, v0, v7
	v_add_co_ci_u32_e32 v0, vcc_lo, v2, v8, vcc_lo
	v_add_co_ci_u32_e32 v2, vcc_lo, 0, v10, vcc_lo
	s_delay_alu instid0(VALU_DEP_2) | instskip(NEXT) | instid1(VALU_DEP_2)
	v_add_co_u32 v0, vcc_lo, v0, v9
	v_add_co_ci_u32_e32 v2, vcc_lo, 0, v2, vcc_lo
	s_delay_alu instid0(VALU_DEP_2) | instskip(SKIP_1) | instid1(VALU_DEP_3)
	v_mul_lo_u32 v7, s9, v0
	v_mad_u64_u32 v[5:6], null, s8, v0, 0
	v_mul_lo_u32 v0, s8, v2
	s_delay_alu instid0(VALU_DEP_2) | instskip(NEXT) | instid1(VALU_DEP_2)
	v_sub_co_u32 v5, vcc_lo, v3, v5
	v_add3_u32 v0, v6, v0, v7
	s_delay_alu instid0(VALU_DEP_1) | instskip(NEXT) | instid1(VALU_DEP_1)
	v_sub_nc_u32_e32 v2, v4, v0
	v_subrev_co_ci_u32_e64 v2, s2, s9, v2, vcc_lo
	s_delay_alu instid0(VALU_DEP_4) | instskip(SKIP_1) | instid1(VALU_DEP_3)
	v_sub_co_u32 v6, s2, v5, s8
	v_sub_co_ci_u32_e32 v0, vcc_lo, v4, v0, vcc_lo
	v_subrev_co_ci_u32_e64 v2, s2, 0, v2, s2
	s_delay_alu instid0(VALU_DEP_3) | instskip(SKIP_1) | instid1(VALU_DEP_3)
	v_cmp_le_u32_e32 vcc_lo, s8, v6
	v_cndmask_b32_e64 v4, 0, -1, vcc_lo
	v_cmp_le_u32_e32 vcc_lo, s9, v2
	v_cndmask_b32_e64 v7, 0, -1, vcc_lo
	;; [unrolled: 2-line block ×4, first 2 shown]
	v_cmp_eq_u32_e32 vcc_lo, s9, v2
	v_cndmask_b32_e32 v2, v7, v4, vcc_lo
	v_sub_co_u32 v4, vcc_lo, v6, s8
	v_cmp_eq_u32_e32 vcc_lo, s9, v0
	v_cndmask_b32_e32 v0, v9, v8, vcc_lo
	s_delay_alu instid0(VALU_DEP_4) | instskip(NEXT) | instid1(VALU_DEP_4)
	v_cmp_ne_u32_e32 vcc_lo, 0, v2
	v_cndmask_b32_e32 v2, v6, v4, vcc_lo
	s_delay_alu instid0(VALU_DEP_3) | instskip(NEXT) | instid1(VALU_DEP_2)
	v_cmp_ne_u32_e32 vcc_lo, 0, v0
	v_cndmask_b32_e32 v5, v5, v2, vcc_lo
	s_and_not1_saveexec_b32 s2, s3
	s_cbranch_execz .LBB14_7
.LBB14_9:
	v_cvt_f32_u32_e32 v0, s8
	s_sub_i32 s3, 0, s8
	s_delay_alu instid0(VALU_DEP_1) | instskip(SKIP_2) | instid1(VALU_DEP_1)
	v_rcp_iflag_f32_e32 v0, v0
	s_waitcnt_depctr 0xfff
	v_mul_f32_e32 v0, 0x4f7ffffe, v0
	v_cvt_u32_f32_e32 v0, v0
	s_delay_alu instid0(VALU_DEP_1) | instskip(NEXT) | instid1(VALU_DEP_1)
	v_mul_lo_u32 v2, s3, v0
	v_mul_hi_u32 v2, v0, v2
	s_delay_alu instid0(VALU_DEP_1) | instskip(NEXT) | instid1(VALU_DEP_1)
	v_add_nc_u32_e32 v0, v0, v2
	v_mul_hi_u32 v0, v3, v0
	s_delay_alu instid0(VALU_DEP_1) | instskip(NEXT) | instid1(VALU_DEP_1)
	v_mul_lo_u32 v0, v0, s8
	v_sub_nc_u32_e32 v0, v3, v0
	s_delay_alu instid0(VALU_DEP_1) | instskip(SKIP_1) | instid1(VALU_DEP_2)
	v_subrev_nc_u32_e32 v2, s8, v0
	v_cmp_le_u32_e32 vcc_lo, s8, v0
	v_cndmask_b32_e32 v0, v0, v2, vcc_lo
	s_delay_alu instid0(VALU_DEP_1) | instskip(SKIP_1) | instid1(VALU_DEP_2)
	v_subrev_nc_u32_e32 v2, s8, v0
	v_cmp_le_u32_e32 vcc_lo, s8, v0
	v_cndmask_b32_e32 v5, v0, v2, vcc_lo
	s_or_b32 exec_lo, exec_lo, s2
	s_cmp_eq_u64 s[6:7], 0
	s_mov_b64 s[2:3], 0
	s_cbranch_scc1 .LBB14_16
.LBB14_10:
	v_mul_lo_u32 v0, v3, s16
	s_load_b32 s0, s[0:1], 0x30
	s_delay_alu instid0(VALU_DEP_1) | instskip(NEXT) | instid1(VALU_DEP_1)
	v_sub_nc_u32_e32 v0, v1, v0
	v_add_nc_u32_e32 v2, 1, v0
	v_cvt_f32_i32_e32 v0, v0
	s_delay_alu instid0(VALU_DEP_2) | instskip(SKIP_1) | instid1(VALU_DEP_2)
	v_cvt_f32_i32_e32 v2, v2
	s_waitcnt lgkmcnt(0)
	v_mul_f32_e32 v0, s0, v0
	s_delay_alu instid0(VALU_DEP_2) | instskip(NEXT) | instid1(VALU_DEP_2)
	v_mul_f32_e32 v2, s0, v2
	v_ceil_f32_e32 v0, v0
	s_delay_alu instid0(VALU_DEP_2) | instskip(NEXT) | instid1(VALU_DEP_2)
	v_ceil_f32_e32 v2, v2
	v_cvt_i32_f32_e32 v3, v0
	s_delay_alu instid0(VALU_DEP_2) | instskip(NEXT) | instid1(VALU_DEP_2)
	v_cvt_i32_f32_e32 v2, v2
	v_min_i32_e32 v0, s10, v3
	s_delay_alu instid0(VALU_DEP_2) | instskip(NEXT) | instid1(VALU_DEP_1)
	v_min_i32_e32 v4, s10, v2
	v_cmp_gt_i32_e64 s0, v4, v3
	s_set_inst_prefetch_distance 0x1
	s_branch .LBB14_12
	.p2align	6
.LBB14_11:                              ;   in Loop: Header=BB14_12 Depth=1
	s_or_b32 exec_lo, exec_lo, s9
	s_add_u32 s2, s2, 1
	s_addc_u32 s3, s3, 0
	v_ashrrev_i32_e32 v3, 31, v1
	v_cmp_ge_u64_e64 s1, s[2:3], s[6:7]
	v_add_co_u32 v6, vcc_lo, s18, v1
	v_add_nc_u32_e32 v1, s12, v1
	s_delay_alu instid0(VALU_DEP_4) | instskip(NEXT) | instid1(VALU_DEP_4)
	v_add_co_ci_u32_e32 v7, vcc_lo, s19, v3, vcc_lo
	s_and_b32 vcc_lo, exec_lo, s1
	global_store_b8 v[6:7], v2, off
	s_cbranch_vccnz .LBB14_16
.LBB14_12:                              ; =>This Loop Header: Depth=1
                                        ;     Child Loop BB14_14 Depth 2
	v_mov_b32_e32 v2, 0
	v_mov_b32_e32 v3, 0
	s_and_saveexec_b32 s9, s0
	s_cbranch_execz .LBB14_11
; %bb.13:                               ;   in Loop: Header=BB14_12 Depth=1
	v_mad_u64_u32 v[2:3], null, s2, s8, v[5:6]
	s_mov_b32 s11, 0
	s_delay_alu instid0(VALU_DEP_1)
	v_mad_u64_u32 v[6:7], null, v2, s10, v[0:1]
	v_dual_mov_b32 v2, 0 :: v_dual_mov_b32 v7, v0
	v_mov_b32_e32 v3, 0
	.p2align	6
.LBB14_14:                              ;   Parent Loop BB14_12 Depth=1
                                        ; =>  This Inner Loop Header: Depth=2
	s_delay_alu instid0(VALU_DEP_3) | instskip(SKIP_1) | instid1(VALU_DEP_4)
	v_ashrrev_i32_e32 v9, 31, v6
	v_add_co_u32 v8, vcc_lo, s4, v6
	v_add_nc_u32_e32 v7, 1, v7
	v_add_nc_u32_e32 v6, 1, v6
	s_delay_alu instid0(VALU_DEP_4) | instskip(NEXT) | instid1(VALU_DEP_3)
	v_add_co_ci_u32_e32 v9, vcc_lo, s5, v9, vcc_lo
	v_cmp_ge_i32_e32 vcc_lo, v7, v4
	global_load_u8 v8, v[8:9], off
	s_or_b32 s11, vcc_lo, s11
	s_waitcnt vmcnt(0)
	v_and_b32_e32 v8, 0xffff, v8
	s_delay_alu instid0(VALU_DEP_1) | instskip(NEXT) | instid1(VALU_DEP_1)
	v_add_co_u32 v2, s1, v2, v8
	v_add_co_ci_u32_e64 v3, s1, 0, v3, s1
	s_and_not1_b32 exec_lo, exec_lo, s11
	s_cbranch_execnz .LBB14_14
; %bb.15:                               ;   in Loop: Header=BB14_12 Depth=1
	s_or_b32 exec_lo, exec_lo, s11
	s_branch .LBB14_11
.LBB14_16:
	s_set_inst_prefetch_distance 0x2
	s_nop 0
	s_sendmsg sendmsg(MSG_DEALLOC_VGPRS)
	s_endpgm
	.section	.rodata,"a",@progbits
	.p2align	6, 0x0
	.amdhsa_kernel _ZN2at6native12_GLOBAL__N_137upsample_nearest1d_backward_out_frameIhlXadL_ZNS0_40nearest_neighbor_bw_compute_source_indexEfiiEEEEvPKT_mmmmPS3_f
		.amdhsa_group_segment_fixed_size 0
		.amdhsa_private_segment_fixed_size 0
		.amdhsa_kernarg_size 312
		.amdhsa_user_sgpr_count 15
		.amdhsa_user_sgpr_dispatch_ptr 0
		.amdhsa_user_sgpr_queue_ptr 0
		.amdhsa_user_sgpr_kernarg_segment_ptr 1
		.amdhsa_user_sgpr_dispatch_id 0
		.amdhsa_user_sgpr_private_segment_size 0
		.amdhsa_wavefront_size32 1
		.amdhsa_uses_dynamic_stack 0
		.amdhsa_enable_private_segment 0
		.amdhsa_system_sgpr_workgroup_id_x 1
		.amdhsa_system_sgpr_workgroup_id_y 0
		.amdhsa_system_sgpr_workgroup_id_z 0
		.amdhsa_system_sgpr_workgroup_info 0
		.amdhsa_system_vgpr_workitem_id 0
		.amdhsa_next_free_vgpr 12
		.amdhsa_next_free_sgpr 20
		.amdhsa_reserve_vcc 1
		.amdhsa_float_round_mode_32 0
		.amdhsa_float_round_mode_16_64 0
		.amdhsa_float_denorm_mode_32 3
		.amdhsa_float_denorm_mode_16_64 3
		.amdhsa_dx10_clamp 1
		.amdhsa_ieee_mode 1
		.amdhsa_fp16_overflow 0
		.amdhsa_workgroup_processor_mode 1
		.amdhsa_memory_ordered 1
		.amdhsa_forward_progress 0
		.amdhsa_shared_vgpr_count 0
		.amdhsa_exception_fp_ieee_invalid_op 0
		.amdhsa_exception_fp_denorm_src 0
		.amdhsa_exception_fp_ieee_div_zero 0
		.amdhsa_exception_fp_ieee_overflow 0
		.amdhsa_exception_fp_ieee_underflow 0
		.amdhsa_exception_fp_ieee_inexact 0
		.amdhsa_exception_int_div_zero 0
	.end_amdhsa_kernel
	.section	.text._ZN2at6native12_GLOBAL__N_137upsample_nearest1d_backward_out_frameIhlXadL_ZNS0_40nearest_neighbor_bw_compute_source_indexEfiiEEEEvPKT_mmmmPS3_f,"axG",@progbits,_ZN2at6native12_GLOBAL__N_137upsample_nearest1d_backward_out_frameIhlXadL_ZNS0_40nearest_neighbor_bw_compute_source_indexEfiiEEEEvPKT_mmmmPS3_f,comdat
.Lfunc_end14:
	.size	_ZN2at6native12_GLOBAL__N_137upsample_nearest1d_backward_out_frameIhlXadL_ZNS0_40nearest_neighbor_bw_compute_source_indexEfiiEEEEvPKT_mmmmPS3_f, .Lfunc_end14-_ZN2at6native12_GLOBAL__N_137upsample_nearest1d_backward_out_frameIhlXadL_ZNS0_40nearest_neighbor_bw_compute_source_indexEfiiEEEEvPKT_mmmmPS3_f
                                        ; -- End function
	.section	.AMDGPU.csdata,"",@progbits
; Kernel info:
; codeLenInByte = 2244
; NumSgprs: 22
; NumVgprs: 12
; ScratchSize: 0
; MemoryBound: 0
; FloatMode: 240
; IeeeMode: 1
; LDSByteSize: 0 bytes/workgroup (compile time only)
; SGPRBlocks: 2
; VGPRBlocks: 1
; NumSGPRsForWavesPerEU: 22
; NumVGPRsForWavesPerEU: 12
; Occupancy: 16
; WaveLimiterHint : 0
; COMPUTE_PGM_RSRC2:SCRATCH_EN: 0
; COMPUTE_PGM_RSRC2:USER_SGPR: 15
; COMPUTE_PGM_RSRC2:TRAP_HANDLER: 0
; COMPUTE_PGM_RSRC2:TGID_X_EN: 1
; COMPUTE_PGM_RSRC2:TGID_Y_EN: 0
; COMPUTE_PGM_RSRC2:TGID_Z_EN: 0
; COMPUTE_PGM_RSRC2:TIDIG_COMP_CNT: 0
	.section	.text._ZN2at6native12_GLOBAL__N_137upsample_nearest1d_backward_out_frameIddXadL_ZNS0_46nearest_neighbor_exact_bw_compute_source_indexEfiiEEEEvPKT_mmmmPS3_f,"axG",@progbits,_ZN2at6native12_GLOBAL__N_137upsample_nearest1d_backward_out_frameIddXadL_ZNS0_46nearest_neighbor_exact_bw_compute_source_indexEfiiEEEEvPKT_mmmmPS3_f,comdat
	.globl	_ZN2at6native12_GLOBAL__N_137upsample_nearest1d_backward_out_frameIddXadL_ZNS0_46nearest_neighbor_exact_bw_compute_source_indexEfiiEEEEvPKT_mmmmPS3_f ; -- Begin function _ZN2at6native12_GLOBAL__N_137upsample_nearest1d_backward_out_frameIddXadL_ZNS0_46nearest_neighbor_exact_bw_compute_source_indexEfiiEEEEvPKT_mmmmPS3_f
	.p2align	8
	.type	_ZN2at6native12_GLOBAL__N_137upsample_nearest1d_backward_out_frameIddXadL_ZNS0_46nearest_neighbor_exact_bw_compute_source_indexEfiiEEEEvPKT_mmmmPS3_f,@function
_ZN2at6native12_GLOBAL__N_137upsample_nearest1d_backward_out_frameIddXadL_ZNS0_46nearest_neighbor_exact_bw_compute_source_indexEfiiEEEEvPKT_mmmmPS3_f: ; @_ZN2at6native12_GLOBAL__N_137upsample_nearest1d_backward_out_frameIddXadL_ZNS0_46nearest_neighbor_exact_bw_compute_source_indexEfiiEEEEvPKT_mmmmPS3_f
; %bb.0:
	s_clause 0x2
	s_load_b32 s2, s[0:1], 0x44
	s_load_b128 s[16:19], s[0:1], 0x20
	s_load_b256 s[4:11], s[0:1], 0x0
	s_waitcnt lgkmcnt(0)
	s_and_b32 s2, s2, 0xffff
	s_delay_alu instid0(SALU_CYCLE_1)
	v_mad_u64_u32 v[1:2], null, s15, s2, v[0:1]
	s_mul_i32 s2, s16, s9
	s_mul_hi_u32 s3, s16, s8
	s_mul_i32 s12, s16, s8
	s_add_i32 s2, s3, s2
	s_mul_i32 s3, s17, s8
	s_delay_alu instid0(SALU_CYCLE_1) | instskip(NEXT) | instid1(VALU_DEP_1)
	s_add_i32 s13, s2, s3
	v_ashrrev_i32_e32 v2, 31, v1
	s_mov_b32 s2, exec_lo
	s_delay_alu instid0(VALU_DEP_1)
	v_cmpx_gt_u64_e64 s[12:13], v[1:2]
	s_cbranch_execz .LBB15_16
; %bb.1:
	v_or_b32_e32 v4, s17, v2
	v_mov_b32_e32 v3, 0
	s_delay_alu instid0(VALU_DEP_1) | instskip(SKIP_1) | instid1(SALU_CYCLE_1)
	v_cmp_ne_u64_e32 vcc_lo, 0, v[3:4]
                                        ; implicit-def: $vgpr3_vgpr4
	s_and_saveexec_b32 s2, vcc_lo
	s_xor_b32 s3, exec_lo, s2
	s_cbranch_execz .LBB15_3
; %bb.2:
	v_cvt_f32_u32_e32 v0, s16
	v_cvt_f32_u32_e32 v3, s17
	s_sub_u32 s2, 0, s16
	s_subb_u32 s11, 0, s17
	s_delay_alu instid0(VALU_DEP_1) | instskip(NEXT) | instid1(VALU_DEP_1)
	v_fmamk_f32 v0, v3, 0x4f800000, v0
	v_rcp_f32_e32 v0, v0
	s_waitcnt_depctr 0xfff
	v_mul_f32_e32 v0, 0x5f7ffffc, v0
	s_delay_alu instid0(VALU_DEP_1) | instskip(NEXT) | instid1(VALU_DEP_1)
	v_mul_f32_e32 v3, 0x2f800000, v0
	v_trunc_f32_e32 v3, v3
	s_delay_alu instid0(VALU_DEP_1) | instskip(SKIP_1) | instid1(VALU_DEP_2)
	v_fmamk_f32 v0, v3, 0xcf800000, v0
	v_cvt_u32_f32_e32 v3, v3
	v_cvt_u32_f32_e32 v0, v0
	s_delay_alu instid0(VALU_DEP_2) | instskip(NEXT) | instid1(VALU_DEP_2)
	v_mul_lo_u32 v4, s2, v3
	v_mul_hi_u32 v5, s2, v0
	v_mul_lo_u32 v6, s11, v0
	s_delay_alu instid0(VALU_DEP_2) | instskip(SKIP_1) | instid1(VALU_DEP_2)
	v_add_nc_u32_e32 v4, v5, v4
	v_mul_lo_u32 v5, s2, v0
	v_add_nc_u32_e32 v4, v4, v6
	s_delay_alu instid0(VALU_DEP_2) | instskip(NEXT) | instid1(VALU_DEP_2)
	v_mul_hi_u32 v6, v0, v5
	v_mul_lo_u32 v7, v0, v4
	v_mul_hi_u32 v8, v0, v4
	v_mul_hi_u32 v9, v3, v5
	v_mul_lo_u32 v5, v3, v5
	v_mul_hi_u32 v10, v3, v4
	v_mul_lo_u32 v4, v3, v4
	v_add_co_u32 v6, vcc_lo, v6, v7
	v_add_co_ci_u32_e32 v7, vcc_lo, 0, v8, vcc_lo
	s_delay_alu instid0(VALU_DEP_2) | instskip(NEXT) | instid1(VALU_DEP_2)
	v_add_co_u32 v5, vcc_lo, v6, v5
	v_add_co_ci_u32_e32 v5, vcc_lo, v7, v9, vcc_lo
	v_add_co_ci_u32_e32 v6, vcc_lo, 0, v10, vcc_lo
	s_delay_alu instid0(VALU_DEP_2) | instskip(NEXT) | instid1(VALU_DEP_2)
	v_add_co_u32 v4, vcc_lo, v5, v4
	v_add_co_ci_u32_e32 v5, vcc_lo, 0, v6, vcc_lo
	s_delay_alu instid0(VALU_DEP_2) | instskip(NEXT) | instid1(VALU_DEP_2)
	v_add_co_u32 v0, vcc_lo, v0, v4
	v_add_co_ci_u32_e32 v3, vcc_lo, v3, v5, vcc_lo
	s_delay_alu instid0(VALU_DEP_2) | instskip(SKIP_1) | instid1(VALU_DEP_3)
	v_mul_hi_u32 v4, s2, v0
	v_mul_lo_u32 v6, s11, v0
	v_mul_lo_u32 v5, s2, v3
	s_delay_alu instid0(VALU_DEP_1) | instskip(SKIP_1) | instid1(VALU_DEP_2)
	v_add_nc_u32_e32 v4, v4, v5
	v_mul_lo_u32 v5, s2, v0
	v_add_nc_u32_e32 v4, v4, v6
	s_delay_alu instid0(VALU_DEP_2) | instskip(NEXT) | instid1(VALU_DEP_2)
	v_mul_hi_u32 v6, v0, v5
	v_mul_lo_u32 v7, v0, v4
	v_mul_hi_u32 v8, v0, v4
	v_mul_hi_u32 v9, v3, v5
	v_mul_lo_u32 v5, v3, v5
	v_mul_hi_u32 v10, v3, v4
	v_mul_lo_u32 v4, v3, v4
	v_add_co_u32 v6, vcc_lo, v6, v7
	v_add_co_ci_u32_e32 v7, vcc_lo, 0, v8, vcc_lo
	s_delay_alu instid0(VALU_DEP_2) | instskip(NEXT) | instid1(VALU_DEP_2)
	v_add_co_u32 v5, vcc_lo, v6, v5
	v_add_co_ci_u32_e32 v5, vcc_lo, v7, v9, vcc_lo
	v_add_co_ci_u32_e32 v6, vcc_lo, 0, v10, vcc_lo
	s_delay_alu instid0(VALU_DEP_2) | instskip(NEXT) | instid1(VALU_DEP_2)
	v_add_co_u32 v4, vcc_lo, v5, v4
	v_add_co_ci_u32_e32 v5, vcc_lo, 0, v6, vcc_lo
	s_delay_alu instid0(VALU_DEP_2) | instskip(NEXT) | instid1(VALU_DEP_2)
	v_add_co_u32 v0, vcc_lo, v0, v4
	v_add_co_ci_u32_e32 v9, vcc_lo, v3, v5, vcc_lo
	s_delay_alu instid0(VALU_DEP_2) | instskip(SKIP_1) | instid1(VALU_DEP_3)
	v_mul_hi_u32 v10, v1, v0
	v_mad_u64_u32 v[5:6], null, v2, v0, 0
	v_mad_u64_u32 v[3:4], null, v1, v9, 0
	;; [unrolled: 1-line block ×3, first 2 shown]
	s_delay_alu instid0(VALU_DEP_2) | instskip(NEXT) | instid1(VALU_DEP_3)
	v_add_co_u32 v0, vcc_lo, v10, v3
	v_add_co_ci_u32_e32 v3, vcc_lo, 0, v4, vcc_lo
	s_delay_alu instid0(VALU_DEP_2) | instskip(NEXT) | instid1(VALU_DEP_2)
	v_add_co_u32 v0, vcc_lo, v0, v5
	v_add_co_ci_u32_e32 v0, vcc_lo, v3, v6, vcc_lo
	v_add_co_ci_u32_e32 v3, vcc_lo, 0, v8, vcc_lo
	s_delay_alu instid0(VALU_DEP_2) | instskip(NEXT) | instid1(VALU_DEP_2)
	v_add_co_u32 v0, vcc_lo, v0, v7
	v_add_co_ci_u32_e32 v5, vcc_lo, 0, v3, vcc_lo
	s_delay_alu instid0(VALU_DEP_2) | instskip(SKIP_1) | instid1(VALU_DEP_3)
	v_mul_lo_u32 v6, s17, v0
	v_mad_u64_u32 v[3:4], null, s16, v0, 0
	v_mul_lo_u32 v7, s16, v5
	s_delay_alu instid0(VALU_DEP_2) | instskip(NEXT) | instid1(VALU_DEP_2)
	v_sub_co_u32 v3, vcc_lo, v1, v3
	v_add3_u32 v4, v4, v7, v6
	s_delay_alu instid0(VALU_DEP_1) | instskip(NEXT) | instid1(VALU_DEP_1)
	v_sub_nc_u32_e32 v6, v2, v4
	v_subrev_co_ci_u32_e64 v6, s2, s17, v6, vcc_lo
	v_add_co_u32 v7, s2, v0, 2
	s_delay_alu instid0(VALU_DEP_1) | instskip(SKIP_3) | instid1(VALU_DEP_3)
	v_add_co_ci_u32_e64 v8, s2, 0, v5, s2
	v_sub_co_u32 v9, s2, v3, s16
	v_sub_co_ci_u32_e32 v2, vcc_lo, v2, v4, vcc_lo
	v_subrev_co_ci_u32_e64 v6, s2, 0, v6, s2
	v_cmp_le_u32_e32 vcc_lo, s16, v9
	s_delay_alu instid0(VALU_DEP_3) | instskip(SKIP_1) | instid1(VALU_DEP_4)
	v_cmp_eq_u32_e64 s2, s17, v2
	v_cndmask_b32_e64 v4, 0, -1, vcc_lo
	v_cmp_le_u32_e32 vcc_lo, s17, v6
	v_cndmask_b32_e64 v9, 0, -1, vcc_lo
	v_cmp_le_u32_e32 vcc_lo, s16, v3
	;; [unrolled: 2-line block ×3, first 2 shown]
	v_cndmask_b32_e64 v10, 0, -1, vcc_lo
	v_cmp_eq_u32_e32 vcc_lo, s17, v6
	s_delay_alu instid0(VALU_DEP_2) | instskip(SKIP_3) | instid1(VALU_DEP_3)
	v_cndmask_b32_e64 v2, v10, v3, s2
	v_cndmask_b32_e32 v4, v9, v4, vcc_lo
	v_add_co_u32 v6, vcc_lo, v0, 1
	v_add_co_ci_u32_e32 v9, vcc_lo, 0, v5, vcc_lo
	v_cmp_ne_u32_e32 vcc_lo, 0, v4
	s_delay_alu instid0(VALU_DEP_2) | instskip(SKIP_1) | instid1(VALU_DEP_2)
	v_dual_cndmask_b32 v3, v9, v8 :: v_dual_cndmask_b32 v6, v6, v7
	v_cmp_ne_u32_e32 vcc_lo, 0, v2
	v_dual_cndmask_b32 v4, v5, v3 :: v_dual_cndmask_b32 v3, v0, v6
.LBB15_3:
	s_and_not1_saveexec_b32 s2, s3
	s_cbranch_execz .LBB15_5
; %bb.4:
	v_cvt_f32_u32_e32 v0, s16
	s_sub_i32 s3, 0, s16
	s_delay_alu instid0(VALU_DEP_1) | instskip(SKIP_2) | instid1(VALU_DEP_1)
	v_rcp_iflag_f32_e32 v0, v0
	s_waitcnt_depctr 0xfff
	v_mul_f32_e32 v0, 0x4f7ffffe, v0
	v_cvt_u32_f32_e32 v0, v0
	s_delay_alu instid0(VALU_DEP_1) | instskip(NEXT) | instid1(VALU_DEP_1)
	v_mul_lo_u32 v2, s3, v0
	v_mul_hi_u32 v2, v0, v2
	s_delay_alu instid0(VALU_DEP_1) | instskip(NEXT) | instid1(VALU_DEP_1)
	v_add_nc_u32_e32 v0, v0, v2
	v_mul_hi_u32 v0, v1, v0
	s_delay_alu instid0(VALU_DEP_1) | instskip(SKIP_1) | instid1(VALU_DEP_2)
	v_mul_lo_u32 v2, v0, s16
	v_add_nc_u32_e32 v3, 1, v0
	v_sub_nc_u32_e32 v2, v1, v2
	s_delay_alu instid0(VALU_DEP_1) | instskip(SKIP_1) | instid1(VALU_DEP_2)
	v_subrev_nc_u32_e32 v4, s16, v2
	v_cmp_le_u32_e32 vcc_lo, s16, v2
	v_cndmask_b32_e32 v2, v2, v4, vcc_lo
	v_mov_b32_e32 v4, 0
	v_cndmask_b32_e32 v0, v0, v3, vcc_lo
	s_delay_alu instid0(VALU_DEP_3) | instskip(NEXT) | instid1(VALU_DEP_2)
	v_cmp_le_u32_e32 vcc_lo, s16, v2
	v_add_nc_u32_e32 v3, 1, v0
	s_delay_alu instid0(VALU_DEP_1)
	v_cndmask_b32_e32 v3, v0, v3, vcc_lo
.LBB15_5:
	s_or_b32 exec_lo, exec_lo, s2
	s_delay_alu instid0(VALU_DEP_1) | instskip(SKIP_1) | instid1(VALU_DEP_1)
	v_or_b32_e32 v6, s9, v4
	v_mov_b32_e32 v5, 0
	v_cmp_ne_u64_e32 vcc_lo, 0, v[5:6]
                                        ; implicit-def: $vgpr5_vgpr6
	s_and_saveexec_b32 s2, vcc_lo
	s_delay_alu instid0(SALU_CYCLE_1)
	s_xor_b32 s3, exec_lo, s2
	s_cbranch_execnz .LBB15_8
; %bb.6:
	s_and_not1_saveexec_b32 s2, s3
	s_cbranch_execnz .LBB15_9
.LBB15_7:
	s_or_b32 exec_lo, exec_lo, s2
	s_cmp_eq_u64 s[6:7], 0
	s_mov_b64 s[2:3], 0
	s_cbranch_scc0 .LBB15_10
	s_branch .LBB15_16
.LBB15_8:
	v_cvt_f32_u32_e32 v0, s8
	v_cvt_f32_u32_e32 v2, s9
	s_sub_u32 s2, 0, s8
	s_subb_u32 s11, 0, s9
	s_delay_alu instid0(VALU_DEP_1) | instskip(NEXT) | instid1(VALU_DEP_1)
	v_fmamk_f32 v0, v2, 0x4f800000, v0
	v_rcp_f32_e32 v0, v0
	s_waitcnt_depctr 0xfff
	v_mul_f32_e32 v0, 0x5f7ffffc, v0
	s_delay_alu instid0(VALU_DEP_1) | instskip(NEXT) | instid1(VALU_DEP_1)
	v_mul_f32_e32 v2, 0x2f800000, v0
	v_trunc_f32_e32 v2, v2
	s_delay_alu instid0(VALU_DEP_1) | instskip(SKIP_1) | instid1(VALU_DEP_2)
	v_fmamk_f32 v0, v2, 0xcf800000, v0
	v_cvt_u32_f32_e32 v2, v2
	v_cvt_u32_f32_e32 v0, v0
	s_delay_alu instid0(VALU_DEP_2) | instskip(NEXT) | instid1(VALU_DEP_2)
	v_mul_lo_u32 v5, s2, v2
	v_mul_hi_u32 v6, s2, v0
	v_mul_lo_u32 v7, s11, v0
	s_delay_alu instid0(VALU_DEP_2) | instskip(SKIP_1) | instid1(VALU_DEP_2)
	v_add_nc_u32_e32 v5, v6, v5
	v_mul_lo_u32 v6, s2, v0
	v_add_nc_u32_e32 v5, v5, v7
	s_delay_alu instid0(VALU_DEP_2) | instskip(NEXT) | instid1(VALU_DEP_2)
	v_mul_hi_u32 v7, v0, v6
	v_mul_lo_u32 v8, v0, v5
	v_mul_hi_u32 v9, v0, v5
	v_mul_hi_u32 v10, v2, v6
	v_mul_lo_u32 v6, v2, v6
	v_mul_hi_u32 v11, v2, v5
	v_mul_lo_u32 v5, v2, v5
	v_add_co_u32 v7, vcc_lo, v7, v8
	v_add_co_ci_u32_e32 v8, vcc_lo, 0, v9, vcc_lo
	s_delay_alu instid0(VALU_DEP_2) | instskip(NEXT) | instid1(VALU_DEP_2)
	v_add_co_u32 v6, vcc_lo, v7, v6
	v_add_co_ci_u32_e32 v6, vcc_lo, v8, v10, vcc_lo
	v_add_co_ci_u32_e32 v7, vcc_lo, 0, v11, vcc_lo
	s_delay_alu instid0(VALU_DEP_2) | instskip(NEXT) | instid1(VALU_DEP_2)
	v_add_co_u32 v5, vcc_lo, v6, v5
	v_add_co_ci_u32_e32 v6, vcc_lo, 0, v7, vcc_lo
	s_delay_alu instid0(VALU_DEP_2) | instskip(NEXT) | instid1(VALU_DEP_2)
	v_add_co_u32 v0, vcc_lo, v0, v5
	v_add_co_ci_u32_e32 v2, vcc_lo, v2, v6, vcc_lo
	s_delay_alu instid0(VALU_DEP_2) | instskip(SKIP_1) | instid1(VALU_DEP_3)
	v_mul_hi_u32 v5, s2, v0
	v_mul_lo_u32 v7, s11, v0
	v_mul_lo_u32 v6, s2, v2
	s_delay_alu instid0(VALU_DEP_1) | instskip(SKIP_1) | instid1(VALU_DEP_2)
	v_add_nc_u32_e32 v5, v5, v6
	v_mul_lo_u32 v6, s2, v0
	v_add_nc_u32_e32 v5, v5, v7
	s_delay_alu instid0(VALU_DEP_2) | instskip(NEXT) | instid1(VALU_DEP_2)
	v_mul_hi_u32 v7, v0, v6
	v_mul_lo_u32 v8, v0, v5
	v_mul_hi_u32 v9, v0, v5
	v_mul_hi_u32 v10, v2, v6
	v_mul_lo_u32 v6, v2, v6
	v_mul_hi_u32 v11, v2, v5
	v_mul_lo_u32 v5, v2, v5
	v_add_co_u32 v7, vcc_lo, v7, v8
	v_add_co_ci_u32_e32 v8, vcc_lo, 0, v9, vcc_lo
	s_delay_alu instid0(VALU_DEP_2) | instskip(NEXT) | instid1(VALU_DEP_2)
	v_add_co_u32 v6, vcc_lo, v7, v6
	v_add_co_ci_u32_e32 v6, vcc_lo, v8, v10, vcc_lo
	v_add_co_ci_u32_e32 v7, vcc_lo, 0, v11, vcc_lo
	s_delay_alu instid0(VALU_DEP_2) | instskip(NEXT) | instid1(VALU_DEP_2)
	v_add_co_u32 v5, vcc_lo, v6, v5
	v_add_co_ci_u32_e32 v6, vcc_lo, 0, v7, vcc_lo
	s_delay_alu instid0(VALU_DEP_2) | instskip(NEXT) | instid1(VALU_DEP_2)
	v_add_co_u32 v0, vcc_lo, v0, v5
	v_add_co_ci_u32_e32 v2, vcc_lo, v2, v6, vcc_lo
	s_delay_alu instid0(VALU_DEP_2) | instskip(SKIP_1) | instid1(VALU_DEP_3)
	v_mul_hi_u32 v11, v3, v0
	v_mad_u64_u32 v[7:8], null, v4, v0, 0
	v_mad_u64_u32 v[5:6], null, v3, v2, 0
	;; [unrolled: 1-line block ×3, first 2 shown]
	s_delay_alu instid0(VALU_DEP_2) | instskip(NEXT) | instid1(VALU_DEP_3)
	v_add_co_u32 v0, vcc_lo, v11, v5
	v_add_co_ci_u32_e32 v2, vcc_lo, 0, v6, vcc_lo
	s_delay_alu instid0(VALU_DEP_2) | instskip(NEXT) | instid1(VALU_DEP_2)
	v_add_co_u32 v0, vcc_lo, v0, v7
	v_add_co_ci_u32_e32 v0, vcc_lo, v2, v8, vcc_lo
	v_add_co_ci_u32_e32 v2, vcc_lo, 0, v10, vcc_lo
	s_delay_alu instid0(VALU_DEP_2) | instskip(NEXT) | instid1(VALU_DEP_2)
	v_add_co_u32 v0, vcc_lo, v0, v9
	v_add_co_ci_u32_e32 v2, vcc_lo, 0, v2, vcc_lo
	s_delay_alu instid0(VALU_DEP_2) | instskip(SKIP_1) | instid1(VALU_DEP_3)
	v_mul_lo_u32 v7, s9, v0
	v_mad_u64_u32 v[5:6], null, s8, v0, 0
	v_mul_lo_u32 v0, s8, v2
	s_delay_alu instid0(VALU_DEP_2) | instskip(NEXT) | instid1(VALU_DEP_2)
	v_sub_co_u32 v5, vcc_lo, v3, v5
	v_add3_u32 v0, v6, v0, v7
	s_delay_alu instid0(VALU_DEP_1) | instskip(NEXT) | instid1(VALU_DEP_1)
	v_sub_nc_u32_e32 v2, v4, v0
	v_subrev_co_ci_u32_e64 v2, s2, s9, v2, vcc_lo
	s_delay_alu instid0(VALU_DEP_4) | instskip(SKIP_1) | instid1(VALU_DEP_3)
	v_sub_co_u32 v6, s2, v5, s8
	v_sub_co_ci_u32_e32 v0, vcc_lo, v4, v0, vcc_lo
	v_subrev_co_ci_u32_e64 v2, s2, 0, v2, s2
	s_delay_alu instid0(VALU_DEP_3) | instskip(SKIP_1) | instid1(VALU_DEP_3)
	v_cmp_le_u32_e32 vcc_lo, s8, v6
	v_cndmask_b32_e64 v4, 0, -1, vcc_lo
	v_cmp_le_u32_e32 vcc_lo, s9, v2
	v_cndmask_b32_e64 v7, 0, -1, vcc_lo
	;; [unrolled: 2-line block ×4, first 2 shown]
	v_cmp_eq_u32_e32 vcc_lo, s9, v2
	v_cndmask_b32_e32 v2, v7, v4, vcc_lo
	v_sub_co_u32 v4, vcc_lo, v6, s8
	v_cmp_eq_u32_e32 vcc_lo, s9, v0
	v_cndmask_b32_e32 v0, v9, v8, vcc_lo
	s_delay_alu instid0(VALU_DEP_4) | instskip(NEXT) | instid1(VALU_DEP_4)
	v_cmp_ne_u32_e32 vcc_lo, 0, v2
	v_cndmask_b32_e32 v2, v6, v4, vcc_lo
	s_delay_alu instid0(VALU_DEP_3) | instskip(NEXT) | instid1(VALU_DEP_2)
	v_cmp_ne_u32_e32 vcc_lo, 0, v0
	v_cndmask_b32_e32 v5, v5, v2, vcc_lo
	s_and_not1_saveexec_b32 s2, s3
	s_cbranch_execz .LBB15_7
.LBB15_9:
	v_cvt_f32_u32_e32 v0, s8
	s_sub_i32 s3, 0, s8
	s_delay_alu instid0(VALU_DEP_1) | instskip(SKIP_2) | instid1(VALU_DEP_1)
	v_rcp_iflag_f32_e32 v0, v0
	s_waitcnt_depctr 0xfff
	v_mul_f32_e32 v0, 0x4f7ffffe, v0
	v_cvt_u32_f32_e32 v0, v0
	s_delay_alu instid0(VALU_DEP_1) | instskip(NEXT) | instid1(VALU_DEP_1)
	v_mul_lo_u32 v2, s3, v0
	v_mul_hi_u32 v2, v0, v2
	s_delay_alu instid0(VALU_DEP_1) | instskip(NEXT) | instid1(VALU_DEP_1)
	v_add_nc_u32_e32 v0, v0, v2
	v_mul_hi_u32 v0, v3, v0
	s_delay_alu instid0(VALU_DEP_1) | instskip(NEXT) | instid1(VALU_DEP_1)
	v_mul_lo_u32 v0, v0, s8
	v_sub_nc_u32_e32 v0, v3, v0
	s_delay_alu instid0(VALU_DEP_1) | instskip(SKIP_1) | instid1(VALU_DEP_2)
	v_subrev_nc_u32_e32 v2, s8, v0
	v_cmp_le_u32_e32 vcc_lo, s8, v0
	v_cndmask_b32_e32 v0, v0, v2, vcc_lo
	s_delay_alu instid0(VALU_DEP_1) | instskip(SKIP_1) | instid1(VALU_DEP_2)
	v_subrev_nc_u32_e32 v2, s8, v0
	v_cmp_le_u32_e32 vcc_lo, s8, v0
	v_cndmask_b32_e32 v5, v0, v2, vcc_lo
	s_or_b32 exec_lo, exec_lo, s2
	s_cmp_eq_u64 s[6:7], 0
	s_mov_b64 s[2:3], 0
	s_cbranch_scc1 .LBB15_16
.LBB15_10:
	v_mul_lo_u32 v0, v3, s16
	s_load_b32 s0, s[0:1], 0x30
	s_delay_alu instid0(VALU_DEP_1) | instskip(NEXT) | instid1(VALU_DEP_1)
	v_sub_nc_u32_e32 v0, v1, v0
	v_add_nc_u32_e32 v2, 1, v0
	v_cvt_f32_i32_e32 v0, v0
	s_delay_alu instid0(VALU_DEP_2) | instskip(SKIP_1) | instid1(VALU_DEP_2)
	v_cvt_f32_i32_e32 v2, v2
	s_waitcnt lgkmcnt(0)
	v_fma_f32 v0, v0, s0, -0.5
	s_delay_alu instid0(VALU_DEP_2) | instskip(NEXT) | instid1(VALU_DEP_2)
	v_fma_f32 v2, v2, s0, -0.5
	v_ceil_f32_e32 v0, v0
	s_delay_alu instid0(VALU_DEP_2) | instskip(NEXT) | instid1(VALU_DEP_2)
	v_ceil_f32_e32 v2, v2
	v_cvt_i32_f32_e32 v3, v0
	s_delay_alu instid0(VALU_DEP_2) | instskip(NEXT) | instid1(VALU_DEP_2)
	v_cvt_i32_f32_e32 v2, v2
	v_min_i32_e32 v0, s10, v3
	s_delay_alu instid0(VALU_DEP_2) | instskip(NEXT) | instid1(VALU_DEP_1)
	v_min_i32_e32 v8, s10, v2
	v_cmp_gt_i32_e64 s0, v8, v3
	s_set_inst_prefetch_distance 0x1
	s_branch .LBB15_12
	.p2align	6
.LBB15_11:                              ;   in Loop: Header=BB15_12 Depth=1
	s_or_b32 exec_lo, exec_lo, s1
	v_ashrrev_i32_e32 v2, 31, v1
	s_add_u32 s2, s2, 1
	s_addc_u32 s3, s3, 0
	s_delay_alu instid0(SALU_CYCLE_1) | instskip(NEXT) | instid1(VALU_DEP_2)
	v_cmp_ge_u64_e64 s1, s[2:3], s[6:7]
	v_lshlrev_b64 v[6:7], 3, v[1:2]
	v_add_nc_u32_e32 v1, s12, v1
	s_delay_alu instid0(VALU_DEP_2) | instskip(NEXT) | instid1(VALU_DEP_3)
	v_add_co_u32 v6, vcc_lo, s18, v6
	v_add_co_ci_u32_e32 v7, vcc_lo, s19, v7, vcc_lo
	s_and_b32 vcc_lo, exec_lo, s1
	global_store_b64 v[6:7], v[3:4], off
	s_cbranch_vccnz .LBB15_16
.LBB15_12:                              ; =>This Loop Header: Depth=1
                                        ;     Child Loop BB15_14 Depth 2
	v_mov_b32_e32 v3, 0
	v_mov_b32_e32 v4, 0
	s_and_saveexec_b32 s1, s0
	s_cbranch_execz .LBB15_11
; %bb.13:                               ;   in Loop: Header=BB15_12 Depth=1
	v_mad_u64_u32 v[2:3], null, s2, s8, v[5:6]
	v_mov_b32_e32 v3, 0
	v_mov_b32_e32 v4, 0
	s_mov_b32 s9, 0
	s_delay_alu instid0(VALU_DEP_3)
	v_mad_u64_u32 v[6:7], null, v2, s10, v[0:1]
	v_mov_b32_e32 v2, v0
.LBB15_14:                              ;   Parent Loop BB15_12 Depth=1
                                        ; =>  This Inner Loop Header: Depth=2
	s_delay_alu instid0(VALU_DEP_2) | instskip(NEXT) | instid1(VALU_DEP_2)
	v_ashrrev_i32_e32 v7, 31, v6
	v_add_nc_u32_e32 v2, 1, v2
	s_delay_alu instid0(VALU_DEP_2) | instskip(SKIP_1) | instid1(VALU_DEP_2)
	v_lshlrev_b64 v[9:10], 3, v[6:7]
	v_add_nc_u32_e32 v6, 1, v6
	v_add_co_u32 v9, vcc_lo, s4, v9
	s_delay_alu instid0(VALU_DEP_3)
	v_add_co_ci_u32_e32 v10, vcc_lo, s5, v10, vcc_lo
	v_cmp_ge_i32_e32 vcc_lo, v2, v8
	global_load_b64 v[9:10], v[9:10], off
	s_or_b32 s9, vcc_lo, s9
	s_waitcnt vmcnt(0)
	v_add_f64 v[3:4], v[3:4], v[9:10]
	s_and_not1_b32 exec_lo, exec_lo, s9
	s_cbranch_execnz .LBB15_14
; %bb.15:                               ;   in Loop: Header=BB15_12 Depth=1
	s_or_b32 exec_lo, exec_lo, s9
	s_branch .LBB15_11
.LBB15_16:
	s_set_inst_prefetch_distance 0x2
	s_nop 0
	s_sendmsg sendmsg(MSG_DEALLOC_VGPRS)
	s_endpgm
	.section	.rodata,"a",@progbits
	.p2align	6, 0x0
	.amdhsa_kernel _ZN2at6native12_GLOBAL__N_137upsample_nearest1d_backward_out_frameIddXadL_ZNS0_46nearest_neighbor_exact_bw_compute_source_indexEfiiEEEEvPKT_mmmmPS3_f
		.amdhsa_group_segment_fixed_size 0
		.amdhsa_private_segment_fixed_size 0
		.amdhsa_kernarg_size 312
		.amdhsa_user_sgpr_count 15
		.amdhsa_user_sgpr_dispatch_ptr 0
		.amdhsa_user_sgpr_queue_ptr 0
		.amdhsa_user_sgpr_kernarg_segment_ptr 1
		.amdhsa_user_sgpr_dispatch_id 0
		.amdhsa_user_sgpr_private_segment_size 0
		.amdhsa_wavefront_size32 1
		.amdhsa_uses_dynamic_stack 0
		.amdhsa_enable_private_segment 0
		.amdhsa_system_sgpr_workgroup_id_x 1
		.amdhsa_system_sgpr_workgroup_id_y 0
		.amdhsa_system_sgpr_workgroup_id_z 0
		.amdhsa_system_sgpr_workgroup_info 0
		.amdhsa_system_vgpr_workitem_id 0
		.amdhsa_next_free_vgpr 12
		.amdhsa_next_free_sgpr 20
		.amdhsa_reserve_vcc 1
		.amdhsa_float_round_mode_32 0
		.amdhsa_float_round_mode_16_64 0
		.amdhsa_float_denorm_mode_32 3
		.amdhsa_float_denorm_mode_16_64 3
		.amdhsa_dx10_clamp 1
		.amdhsa_ieee_mode 1
		.amdhsa_fp16_overflow 0
		.amdhsa_workgroup_processor_mode 1
		.amdhsa_memory_ordered 1
		.amdhsa_forward_progress 0
		.amdhsa_shared_vgpr_count 0
		.amdhsa_exception_fp_ieee_invalid_op 0
		.amdhsa_exception_fp_denorm_src 0
		.amdhsa_exception_fp_ieee_div_zero 0
		.amdhsa_exception_fp_ieee_overflow 0
		.amdhsa_exception_fp_ieee_underflow 0
		.amdhsa_exception_fp_ieee_inexact 0
		.amdhsa_exception_int_div_zero 0
	.end_amdhsa_kernel
	.section	.text._ZN2at6native12_GLOBAL__N_137upsample_nearest1d_backward_out_frameIddXadL_ZNS0_46nearest_neighbor_exact_bw_compute_source_indexEfiiEEEEvPKT_mmmmPS3_f,"axG",@progbits,_ZN2at6native12_GLOBAL__N_137upsample_nearest1d_backward_out_frameIddXadL_ZNS0_46nearest_neighbor_exact_bw_compute_source_indexEfiiEEEEvPKT_mmmmPS3_f,comdat
.Lfunc_end15:
	.size	_ZN2at6native12_GLOBAL__N_137upsample_nearest1d_backward_out_frameIddXadL_ZNS0_46nearest_neighbor_exact_bw_compute_source_indexEfiiEEEEvPKT_mmmmPS3_f, .Lfunc_end15-_ZN2at6native12_GLOBAL__N_137upsample_nearest1d_backward_out_frameIddXadL_ZNS0_46nearest_neighbor_exact_bw_compute_source_indexEfiiEEEEvPKT_mmmmPS3_f
                                        ; -- End function
	.section	.AMDGPU.csdata,"",@progbits
; Kernel info:
; codeLenInByte = 2256
; NumSgprs: 22
; NumVgprs: 12
; ScratchSize: 0
; MemoryBound: 0
; FloatMode: 240
; IeeeMode: 1
; LDSByteSize: 0 bytes/workgroup (compile time only)
; SGPRBlocks: 2
; VGPRBlocks: 1
; NumSGPRsForWavesPerEU: 22
; NumVGPRsForWavesPerEU: 12
; Occupancy: 16
; WaveLimiterHint : 0
; COMPUTE_PGM_RSRC2:SCRATCH_EN: 0
; COMPUTE_PGM_RSRC2:USER_SGPR: 15
; COMPUTE_PGM_RSRC2:TRAP_HANDLER: 0
; COMPUTE_PGM_RSRC2:TGID_X_EN: 1
; COMPUTE_PGM_RSRC2:TGID_Y_EN: 0
; COMPUTE_PGM_RSRC2:TGID_Z_EN: 0
; COMPUTE_PGM_RSRC2:TIDIG_COMP_CNT: 0
	.section	.text._ZN2at6native12_GLOBAL__N_137upsample_nearest1d_backward_out_frameIffXadL_ZNS0_46nearest_neighbor_exact_bw_compute_source_indexEfiiEEEEvPKT_mmmmPS3_f,"axG",@progbits,_ZN2at6native12_GLOBAL__N_137upsample_nearest1d_backward_out_frameIffXadL_ZNS0_46nearest_neighbor_exact_bw_compute_source_indexEfiiEEEEvPKT_mmmmPS3_f,comdat
	.globl	_ZN2at6native12_GLOBAL__N_137upsample_nearest1d_backward_out_frameIffXadL_ZNS0_46nearest_neighbor_exact_bw_compute_source_indexEfiiEEEEvPKT_mmmmPS3_f ; -- Begin function _ZN2at6native12_GLOBAL__N_137upsample_nearest1d_backward_out_frameIffXadL_ZNS0_46nearest_neighbor_exact_bw_compute_source_indexEfiiEEEEvPKT_mmmmPS3_f
	.p2align	8
	.type	_ZN2at6native12_GLOBAL__N_137upsample_nearest1d_backward_out_frameIffXadL_ZNS0_46nearest_neighbor_exact_bw_compute_source_indexEfiiEEEEvPKT_mmmmPS3_f,@function
_ZN2at6native12_GLOBAL__N_137upsample_nearest1d_backward_out_frameIffXadL_ZNS0_46nearest_neighbor_exact_bw_compute_source_indexEfiiEEEEvPKT_mmmmPS3_f: ; @_ZN2at6native12_GLOBAL__N_137upsample_nearest1d_backward_out_frameIffXadL_ZNS0_46nearest_neighbor_exact_bw_compute_source_indexEfiiEEEEvPKT_mmmmPS3_f
; %bb.0:
	s_clause 0x2
	s_load_b32 s2, s[0:1], 0x44
	s_load_b128 s[16:19], s[0:1], 0x20
	s_load_b256 s[4:11], s[0:1], 0x0
	s_waitcnt lgkmcnt(0)
	s_and_b32 s2, s2, 0xffff
	s_delay_alu instid0(SALU_CYCLE_1)
	v_mad_u64_u32 v[1:2], null, s15, s2, v[0:1]
	s_mul_i32 s2, s16, s9
	s_mul_hi_u32 s3, s16, s8
	s_mul_i32 s12, s16, s8
	s_add_i32 s2, s3, s2
	s_mul_i32 s3, s17, s8
	s_delay_alu instid0(SALU_CYCLE_1) | instskip(NEXT) | instid1(VALU_DEP_1)
	s_add_i32 s13, s2, s3
	v_ashrrev_i32_e32 v2, 31, v1
	s_mov_b32 s2, exec_lo
	s_delay_alu instid0(VALU_DEP_1)
	v_cmpx_gt_u64_e64 s[12:13], v[1:2]
	s_cbranch_execz .LBB16_16
; %bb.1:
	v_or_b32_e32 v4, s17, v2
	v_mov_b32_e32 v3, 0
	s_delay_alu instid0(VALU_DEP_1) | instskip(SKIP_1) | instid1(SALU_CYCLE_1)
	v_cmp_ne_u64_e32 vcc_lo, 0, v[3:4]
                                        ; implicit-def: $vgpr3_vgpr4
	s_and_saveexec_b32 s2, vcc_lo
	s_xor_b32 s3, exec_lo, s2
	s_cbranch_execz .LBB16_3
; %bb.2:
	v_cvt_f32_u32_e32 v0, s16
	v_cvt_f32_u32_e32 v3, s17
	s_sub_u32 s2, 0, s16
	s_subb_u32 s11, 0, s17
	s_delay_alu instid0(VALU_DEP_1) | instskip(NEXT) | instid1(VALU_DEP_1)
	v_fmamk_f32 v0, v3, 0x4f800000, v0
	v_rcp_f32_e32 v0, v0
	s_waitcnt_depctr 0xfff
	v_mul_f32_e32 v0, 0x5f7ffffc, v0
	s_delay_alu instid0(VALU_DEP_1) | instskip(NEXT) | instid1(VALU_DEP_1)
	v_mul_f32_e32 v3, 0x2f800000, v0
	v_trunc_f32_e32 v3, v3
	s_delay_alu instid0(VALU_DEP_1) | instskip(SKIP_1) | instid1(VALU_DEP_2)
	v_fmamk_f32 v0, v3, 0xcf800000, v0
	v_cvt_u32_f32_e32 v3, v3
	v_cvt_u32_f32_e32 v0, v0
	s_delay_alu instid0(VALU_DEP_2) | instskip(NEXT) | instid1(VALU_DEP_2)
	v_mul_lo_u32 v4, s2, v3
	v_mul_hi_u32 v5, s2, v0
	v_mul_lo_u32 v6, s11, v0
	s_delay_alu instid0(VALU_DEP_2) | instskip(SKIP_1) | instid1(VALU_DEP_2)
	v_add_nc_u32_e32 v4, v5, v4
	v_mul_lo_u32 v5, s2, v0
	v_add_nc_u32_e32 v4, v4, v6
	s_delay_alu instid0(VALU_DEP_2) | instskip(NEXT) | instid1(VALU_DEP_2)
	v_mul_hi_u32 v6, v0, v5
	v_mul_lo_u32 v7, v0, v4
	v_mul_hi_u32 v8, v0, v4
	v_mul_hi_u32 v9, v3, v5
	v_mul_lo_u32 v5, v3, v5
	v_mul_hi_u32 v10, v3, v4
	v_mul_lo_u32 v4, v3, v4
	v_add_co_u32 v6, vcc_lo, v6, v7
	v_add_co_ci_u32_e32 v7, vcc_lo, 0, v8, vcc_lo
	s_delay_alu instid0(VALU_DEP_2) | instskip(NEXT) | instid1(VALU_DEP_2)
	v_add_co_u32 v5, vcc_lo, v6, v5
	v_add_co_ci_u32_e32 v5, vcc_lo, v7, v9, vcc_lo
	v_add_co_ci_u32_e32 v6, vcc_lo, 0, v10, vcc_lo
	s_delay_alu instid0(VALU_DEP_2) | instskip(NEXT) | instid1(VALU_DEP_2)
	v_add_co_u32 v4, vcc_lo, v5, v4
	v_add_co_ci_u32_e32 v5, vcc_lo, 0, v6, vcc_lo
	s_delay_alu instid0(VALU_DEP_2) | instskip(NEXT) | instid1(VALU_DEP_2)
	v_add_co_u32 v0, vcc_lo, v0, v4
	v_add_co_ci_u32_e32 v3, vcc_lo, v3, v5, vcc_lo
	s_delay_alu instid0(VALU_DEP_2) | instskip(SKIP_1) | instid1(VALU_DEP_3)
	v_mul_hi_u32 v4, s2, v0
	v_mul_lo_u32 v6, s11, v0
	v_mul_lo_u32 v5, s2, v3
	s_delay_alu instid0(VALU_DEP_1) | instskip(SKIP_1) | instid1(VALU_DEP_2)
	v_add_nc_u32_e32 v4, v4, v5
	v_mul_lo_u32 v5, s2, v0
	v_add_nc_u32_e32 v4, v4, v6
	s_delay_alu instid0(VALU_DEP_2) | instskip(NEXT) | instid1(VALU_DEP_2)
	v_mul_hi_u32 v6, v0, v5
	v_mul_lo_u32 v7, v0, v4
	v_mul_hi_u32 v8, v0, v4
	v_mul_hi_u32 v9, v3, v5
	v_mul_lo_u32 v5, v3, v5
	v_mul_hi_u32 v10, v3, v4
	v_mul_lo_u32 v4, v3, v4
	v_add_co_u32 v6, vcc_lo, v6, v7
	v_add_co_ci_u32_e32 v7, vcc_lo, 0, v8, vcc_lo
	s_delay_alu instid0(VALU_DEP_2) | instskip(NEXT) | instid1(VALU_DEP_2)
	v_add_co_u32 v5, vcc_lo, v6, v5
	v_add_co_ci_u32_e32 v5, vcc_lo, v7, v9, vcc_lo
	v_add_co_ci_u32_e32 v6, vcc_lo, 0, v10, vcc_lo
	s_delay_alu instid0(VALU_DEP_2) | instskip(NEXT) | instid1(VALU_DEP_2)
	v_add_co_u32 v4, vcc_lo, v5, v4
	v_add_co_ci_u32_e32 v5, vcc_lo, 0, v6, vcc_lo
	s_delay_alu instid0(VALU_DEP_2) | instskip(NEXT) | instid1(VALU_DEP_2)
	v_add_co_u32 v0, vcc_lo, v0, v4
	v_add_co_ci_u32_e32 v9, vcc_lo, v3, v5, vcc_lo
	s_delay_alu instid0(VALU_DEP_2) | instskip(SKIP_1) | instid1(VALU_DEP_3)
	v_mul_hi_u32 v10, v1, v0
	v_mad_u64_u32 v[5:6], null, v2, v0, 0
	v_mad_u64_u32 v[3:4], null, v1, v9, 0
	;; [unrolled: 1-line block ×3, first 2 shown]
	s_delay_alu instid0(VALU_DEP_2) | instskip(NEXT) | instid1(VALU_DEP_3)
	v_add_co_u32 v0, vcc_lo, v10, v3
	v_add_co_ci_u32_e32 v3, vcc_lo, 0, v4, vcc_lo
	s_delay_alu instid0(VALU_DEP_2) | instskip(NEXT) | instid1(VALU_DEP_2)
	v_add_co_u32 v0, vcc_lo, v0, v5
	v_add_co_ci_u32_e32 v0, vcc_lo, v3, v6, vcc_lo
	v_add_co_ci_u32_e32 v3, vcc_lo, 0, v8, vcc_lo
	s_delay_alu instid0(VALU_DEP_2) | instskip(NEXT) | instid1(VALU_DEP_2)
	v_add_co_u32 v0, vcc_lo, v0, v7
	v_add_co_ci_u32_e32 v5, vcc_lo, 0, v3, vcc_lo
	s_delay_alu instid0(VALU_DEP_2) | instskip(SKIP_1) | instid1(VALU_DEP_3)
	v_mul_lo_u32 v6, s17, v0
	v_mad_u64_u32 v[3:4], null, s16, v0, 0
	v_mul_lo_u32 v7, s16, v5
	s_delay_alu instid0(VALU_DEP_2) | instskip(NEXT) | instid1(VALU_DEP_2)
	v_sub_co_u32 v3, vcc_lo, v1, v3
	v_add3_u32 v4, v4, v7, v6
	s_delay_alu instid0(VALU_DEP_1) | instskip(NEXT) | instid1(VALU_DEP_1)
	v_sub_nc_u32_e32 v6, v2, v4
	v_subrev_co_ci_u32_e64 v6, s2, s17, v6, vcc_lo
	v_add_co_u32 v7, s2, v0, 2
	s_delay_alu instid0(VALU_DEP_1) | instskip(SKIP_3) | instid1(VALU_DEP_3)
	v_add_co_ci_u32_e64 v8, s2, 0, v5, s2
	v_sub_co_u32 v9, s2, v3, s16
	v_sub_co_ci_u32_e32 v2, vcc_lo, v2, v4, vcc_lo
	v_subrev_co_ci_u32_e64 v6, s2, 0, v6, s2
	v_cmp_le_u32_e32 vcc_lo, s16, v9
	s_delay_alu instid0(VALU_DEP_3) | instskip(SKIP_1) | instid1(VALU_DEP_4)
	v_cmp_eq_u32_e64 s2, s17, v2
	v_cndmask_b32_e64 v4, 0, -1, vcc_lo
	v_cmp_le_u32_e32 vcc_lo, s17, v6
	v_cndmask_b32_e64 v9, 0, -1, vcc_lo
	v_cmp_le_u32_e32 vcc_lo, s16, v3
	;; [unrolled: 2-line block ×3, first 2 shown]
	v_cndmask_b32_e64 v10, 0, -1, vcc_lo
	v_cmp_eq_u32_e32 vcc_lo, s17, v6
	s_delay_alu instid0(VALU_DEP_2) | instskip(SKIP_3) | instid1(VALU_DEP_3)
	v_cndmask_b32_e64 v2, v10, v3, s2
	v_cndmask_b32_e32 v4, v9, v4, vcc_lo
	v_add_co_u32 v6, vcc_lo, v0, 1
	v_add_co_ci_u32_e32 v9, vcc_lo, 0, v5, vcc_lo
	v_cmp_ne_u32_e32 vcc_lo, 0, v4
	s_delay_alu instid0(VALU_DEP_2) | instskip(SKIP_1) | instid1(VALU_DEP_2)
	v_dual_cndmask_b32 v3, v9, v8 :: v_dual_cndmask_b32 v6, v6, v7
	v_cmp_ne_u32_e32 vcc_lo, 0, v2
	v_dual_cndmask_b32 v4, v5, v3 :: v_dual_cndmask_b32 v3, v0, v6
.LBB16_3:
	s_and_not1_saveexec_b32 s2, s3
	s_cbranch_execz .LBB16_5
; %bb.4:
	v_cvt_f32_u32_e32 v0, s16
	s_sub_i32 s3, 0, s16
	s_delay_alu instid0(VALU_DEP_1) | instskip(SKIP_2) | instid1(VALU_DEP_1)
	v_rcp_iflag_f32_e32 v0, v0
	s_waitcnt_depctr 0xfff
	v_mul_f32_e32 v0, 0x4f7ffffe, v0
	v_cvt_u32_f32_e32 v0, v0
	s_delay_alu instid0(VALU_DEP_1) | instskip(NEXT) | instid1(VALU_DEP_1)
	v_mul_lo_u32 v2, s3, v0
	v_mul_hi_u32 v2, v0, v2
	s_delay_alu instid0(VALU_DEP_1) | instskip(NEXT) | instid1(VALU_DEP_1)
	v_add_nc_u32_e32 v0, v0, v2
	v_mul_hi_u32 v0, v1, v0
	s_delay_alu instid0(VALU_DEP_1) | instskip(SKIP_1) | instid1(VALU_DEP_2)
	v_mul_lo_u32 v2, v0, s16
	v_add_nc_u32_e32 v3, 1, v0
	v_sub_nc_u32_e32 v2, v1, v2
	s_delay_alu instid0(VALU_DEP_1) | instskip(SKIP_1) | instid1(VALU_DEP_2)
	v_subrev_nc_u32_e32 v4, s16, v2
	v_cmp_le_u32_e32 vcc_lo, s16, v2
	v_cndmask_b32_e32 v2, v2, v4, vcc_lo
	v_mov_b32_e32 v4, 0
	v_cndmask_b32_e32 v0, v0, v3, vcc_lo
	s_delay_alu instid0(VALU_DEP_3) | instskip(NEXT) | instid1(VALU_DEP_2)
	v_cmp_le_u32_e32 vcc_lo, s16, v2
	v_add_nc_u32_e32 v3, 1, v0
	s_delay_alu instid0(VALU_DEP_1)
	v_cndmask_b32_e32 v3, v0, v3, vcc_lo
.LBB16_5:
	s_or_b32 exec_lo, exec_lo, s2
	s_delay_alu instid0(VALU_DEP_1) | instskip(SKIP_1) | instid1(VALU_DEP_1)
	v_or_b32_e32 v6, s9, v4
	v_mov_b32_e32 v5, 0
	v_cmp_ne_u64_e32 vcc_lo, 0, v[5:6]
                                        ; implicit-def: $vgpr5_vgpr6
	s_and_saveexec_b32 s2, vcc_lo
	s_delay_alu instid0(SALU_CYCLE_1)
	s_xor_b32 s3, exec_lo, s2
	s_cbranch_execnz .LBB16_8
; %bb.6:
	s_and_not1_saveexec_b32 s2, s3
	s_cbranch_execnz .LBB16_9
.LBB16_7:
	s_or_b32 exec_lo, exec_lo, s2
	s_cmp_eq_u64 s[6:7], 0
	s_mov_b64 s[2:3], 0
	s_cbranch_scc0 .LBB16_10
	s_branch .LBB16_16
.LBB16_8:
	v_cvt_f32_u32_e32 v0, s8
	v_cvt_f32_u32_e32 v2, s9
	s_sub_u32 s2, 0, s8
	s_subb_u32 s11, 0, s9
	s_delay_alu instid0(VALU_DEP_1) | instskip(NEXT) | instid1(VALU_DEP_1)
	v_fmamk_f32 v0, v2, 0x4f800000, v0
	v_rcp_f32_e32 v0, v0
	s_waitcnt_depctr 0xfff
	v_mul_f32_e32 v0, 0x5f7ffffc, v0
	s_delay_alu instid0(VALU_DEP_1) | instskip(NEXT) | instid1(VALU_DEP_1)
	v_mul_f32_e32 v2, 0x2f800000, v0
	v_trunc_f32_e32 v2, v2
	s_delay_alu instid0(VALU_DEP_1) | instskip(SKIP_1) | instid1(VALU_DEP_2)
	v_fmamk_f32 v0, v2, 0xcf800000, v0
	v_cvt_u32_f32_e32 v2, v2
	v_cvt_u32_f32_e32 v0, v0
	s_delay_alu instid0(VALU_DEP_2) | instskip(NEXT) | instid1(VALU_DEP_2)
	v_mul_lo_u32 v5, s2, v2
	v_mul_hi_u32 v6, s2, v0
	v_mul_lo_u32 v7, s11, v0
	s_delay_alu instid0(VALU_DEP_2) | instskip(SKIP_1) | instid1(VALU_DEP_2)
	v_add_nc_u32_e32 v5, v6, v5
	v_mul_lo_u32 v6, s2, v0
	v_add_nc_u32_e32 v5, v5, v7
	s_delay_alu instid0(VALU_DEP_2) | instskip(NEXT) | instid1(VALU_DEP_2)
	v_mul_hi_u32 v7, v0, v6
	v_mul_lo_u32 v8, v0, v5
	v_mul_hi_u32 v9, v0, v5
	v_mul_hi_u32 v10, v2, v6
	v_mul_lo_u32 v6, v2, v6
	v_mul_hi_u32 v11, v2, v5
	v_mul_lo_u32 v5, v2, v5
	v_add_co_u32 v7, vcc_lo, v7, v8
	v_add_co_ci_u32_e32 v8, vcc_lo, 0, v9, vcc_lo
	s_delay_alu instid0(VALU_DEP_2) | instskip(NEXT) | instid1(VALU_DEP_2)
	v_add_co_u32 v6, vcc_lo, v7, v6
	v_add_co_ci_u32_e32 v6, vcc_lo, v8, v10, vcc_lo
	v_add_co_ci_u32_e32 v7, vcc_lo, 0, v11, vcc_lo
	s_delay_alu instid0(VALU_DEP_2) | instskip(NEXT) | instid1(VALU_DEP_2)
	v_add_co_u32 v5, vcc_lo, v6, v5
	v_add_co_ci_u32_e32 v6, vcc_lo, 0, v7, vcc_lo
	s_delay_alu instid0(VALU_DEP_2) | instskip(NEXT) | instid1(VALU_DEP_2)
	v_add_co_u32 v0, vcc_lo, v0, v5
	v_add_co_ci_u32_e32 v2, vcc_lo, v2, v6, vcc_lo
	s_delay_alu instid0(VALU_DEP_2) | instskip(SKIP_1) | instid1(VALU_DEP_3)
	v_mul_hi_u32 v5, s2, v0
	v_mul_lo_u32 v7, s11, v0
	v_mul_lo_u32 v6, s2, v2
	s_delay_alu instid0(VALU_DEP_1) | instskip(SKIP_1) | instid1(VALU_DEP_2)
	v_add_nc_u32_e32 v5, v5, v6
	v_mul_lo_u32 v6, s2, v0
	v_add_nc_u32_e32 v5, v5, v7
	s_delay_alu instid0(VALU_DEP_2) | instskip(NEXT) | instid1(VALU_DEP_2)
	v_mul_hi_u32 v7, v0, v6
	v_mul_lo_u32 v8, v0, v5
	v_mul_hi_u32 v9, v0, v5
	v_mul_hi_u32 v10, v2, v6
	v_mul_lo_u32 v6, v2, v6
	v_mul_hi_u32 v11, v2, v5
	v_mul_lo_u32 v5, v2, v5
	v_add_co_u32 v7, vcc_lo, v7, v8
	v_add_co_ci_u32_e32 v8, vcc_lo, 0, v9, vcc_lo
	s_delay_alu instid0(VALU_DEP_2) | instskip(NEXT) | instid1(VALU_DEP_2)
	v_add_co_u32 v6, vcc_lo, v7, v6
	v_add_co_ci_u32_e32 v6, vcc_lo, v8, v10, vcc_lo
	v_add_co_ci_u32_e32 v7, vcc_lo, 0, v11, vcc_lo
	s_delay_alu instid0(VALU_DEP_2) | instskip(NEXT) | instid1(VALU_DEP_2)
	v_add_co_u32 v5, vcc_lo, v6, v5
	v_add_co_ci_u32_e32 v6, vcc_lo, 0, v7, vcc_lo
	s_delay_alu instid0(VALU_DEP_2) | instskip(NEXT) | instid1(VALU_DEP_2)
	v_add_co_u32 v0, vcc_lo, v0, v5
	v_add_co_ci_u32_e32 v2, vcc_lo, v2, v6, vcc_lo
	s_delay_alu instid0(VALU_DEP_2) | instskip(SKIP_1) | instid1(VALU_DEP_3)
	v_mul_hi_u32 v11, v3, v0
	v_mad_u64_u32 v[7:8], null, v4, v0, 0
	v_mad_u64_u32 v[5:6], null, v3, v2, 0
	;; [unrolled: 1-line block ×3, first 2 shown]
	s_delay_alu instid0(VALU_DEP_2) | instskip(NEXT) | instid1(VALU_DEP_3)
	v_add_co_u32 v0, vcc_lo, v11, v5
	v_add_co_ci_u32_e32 v2, vcc_lo, 0, v6, vcc_lo
	s_delay_alu instid0(VALU_DEP_2) | instskip(NEXT) | instid1(VALU_DEP_2)
	v_add_co_u32 v0, vcc_lo, v0, v7
	v_add_co_ci_u32_e32 v0, vcc_lo, v2, v8, vcc_lo
	v_add_co_ci_u32_e32 v2, vcc_lo, 0, v10, vcc_lo
	s_delay_alu instid0(VALU_DEP_2) | instskip(NEXT) | instid1(VALU_DEP_2)
	v_add_co_u32 v0, vcc_lo, v0, v9
	v_add_co_ci_u32_e32 v2, vcc_lo, 0, v2, vcc_lo
	s_delay_alu instid0(VALU_DEP_2) | instskip(SKIP_1) | instid1(VALU_DEP_3)
	v_mul_lo_u32 v7, s9, v0
	v_mad_u64_u32 v[5:6], null, s8, v0, 0
	v_mul_lo_u32 v0, s8, v2
	s_delay_alu instid0(VALU_DEP_2) | instskip(NEXT) | instid1(VALU_DEP_2)
	v_sub_co_u32 v5, vcc_lo, v3, v5
	v_add3_u32 v0, v6, v0, v7
	s_delay_alu instid0(VALU_DEP_1) | instskip(NEXT) | instid1(VALU_DEP_1)
	v_sub_nc_u32_e32 v2, v4, v0
	v_subrev_co_ci_u32_e64 v2, s2, s9, v2, vcc_lo
	s_delay_alu instid0(VALU_DEP_4) | instskip(SKIP_1) | instid1(VALU_DEP_3)
	v_sub_co_u32 v6, s2, v5, s8
	v_sub_co_ci_u32_e32 v0, vcc_lo, v4, v0, vcc_lo
	v_subrev_co_ci_u32_e64 v2, s2, 0, v2, s2
	s_delay_alu instid0(VALU_DEP_3) | instskip(SKIP_1) | instid1(VALU_DEP_3)
	v_cmp_le_u32_e32 vcc_lo, s8, v6
	v_cndmask_b32_e64 v4, 0, -1, vcc_lo
	v_cmp_le_u32_e32 vcc_lo, s9, v2
	v_cndmask_b32_e64 v7, 0, -1, vcc_lo
	;; [unrolled: 2-line block ×4, first 2 shown]
	v_cmp_eq_u32_e32 vcc_lo, s9, v2
	v_cndmask_b32_e32 v2, v7, v4, vcc_lo
	v_sub_co_u32 v4, vcc_lo, v6, s8
	v_cmp_eq_u32_e32 vcc_lo, s9, v0
	v_cndmask_b32_e32 v0, v9, v8, vcc_lo
	s_delay_alu instid0(VALU_DEP_4) | instskip(NEXT) | instid1(VALU_DEP_4)
	v_cmp_ne_u32_e32 vcc_lo, 0, v2
	v_cndmask_b32_e32 v2, v6, v4, vcc_lo
	s_delay_alu instid0(VALU_DEP_3) | instskip(NEXT) | instid1(VALU_DEP_2)
	v_cmp_ne_u32_e32 vcc_lo, 0, v0
	v_cndmask_b32_e32 v5, v5, v2, vcc_lo
	s_and_not1_saveexec_b32 s2, s3
	s_cbranch_execz .LBB16_7
.LBB16_9:
	v_cvt_f32_u32_e32 v0, s8
	s_sub_i32 s3, 0, s8
	s_delay_alu instid0(VALU_DEP_1) | instskip(SKIP_2) | instid1(VALU_DEP_1)
	v_rcp_iflag_f32_e32 v0, v0
	s_waitcnt_depctr 0xfff
	v_mul_f32_e32 v0, 0x4f7ffffe, v0
	v_cvt_u32_f32_e32 v0, v0
	s_delay_alu instid0(VALU_DEP_1) | instskip(NEXT) | instid1(VALU_DEP_1)
	v_mul_lo_u32 v2, s3, v0
	v_mul_hi_u32 v2, v0, v2
	s_delay_alu instid0(VALU_DEP_1) | instskip(NEXT) | instid1(VALU_DEP_1)
	v_add_nc_u32_e32 v0, v0, v2
	v_mul_hi_u32 v0, v3, v0
	s_delay_alu instid0(VALU_DEP_1) | instskip(NEXT) | instid1(VALU_DEP_1)
	v_mul_lo_u32 v0, v0, s8
	v_sub_nc_u32_e32 v0, v3, v0
	s_delay_alu instid0(VALU_DEP_1) | instskip(SKIP_1) | instid1(VALU_DEP_2)
	v_subrev_nc_u32_e32 v2, s8, v0
	v_cmp_le_u32_e32 vcc_lo, s8, v0
	v_cndmask_b32_e32 v0, v0, v2, vcc_lo
	s_delay_alu instid0(VALU_DEP_1) | instskip(SKIP_1) | instid1(VALU_DEP_2)
	v_subrev_nc_u32_e32 v2, s8, v0
	v_cmp_le_u32_e32 vcc_lo, s8, v0
	v_cndmask_b32_e32 v5, v0, v2, vcc_lo
	s_or_b32 exec_lo, exec_lo, s2
	s_cmp_eq_u64 s[6:7], 0
	s_mov_b64 s[2:3], 0
	s_cbranch_scc1 .LBB16_16
.LBB16_10:
	v_mul_lo_u32 v0, v3, s16
	s_load_b32 s0, s[0:1], 0x30
	s_delay_alu instid0(VALU_DEP_1) | instskip(NEXT) | instid1(VALU_DEP_1)
	v_sub_nc_u32_e32 v0, v1, v0
	v_add_nc_u32_e32 v2, 1, v0
	v_cvt_f32_i32_e32 v0, v0
	s_delay_alu instid0(VALU_DEP_2) | instskip(SKIP_1) | instid1(VALU_DEP_2)
	v_cvt_f32_i32_e32 v2, v2
	s_waitcnt lgkmcnt(0)
	v_fma_f32 v0, v0, s0, -0.5
	s_delay_alu instid0(VALU_DEP_2) | instskip(NEXT) | instid1(VALU_DEP_2)
	v_fma_f32 v2, v2, s0, -0.5
	v_ceil_f32_e32 v0, v0
	s_delay_alu instid0(VALU_DEP_2) | instskip(NEXT) | instid1(VALU_DEP_2)
	v_ceil_f32_e32 v2, v2
	v_cvt_i32_f32_e32 v3, v0
	s_delay_alu instid0(VALU_DEP_2) | instskip(NEXT) | instid1(VALU_DEP_2)
	v_cvt_i32_f32_e32 v2, v2
	v_min_i32_e32 v0, s10, v3
	s_delay_alu instid0(VALU_DEP_2) | instskip(NEXT) | instid1(VALU_DEP_1)
	v_min_i32_e32 v4, s10, v2
	v_cmp_gt_i32_e64 s0, v4, v3
	s_set_inst_prefetch_distance 0x1
	s_branch .LBB16_12
	.p2align	6
.LBB16_11:                              ;   in Loop: Header=BB16_12 Depth=1
	s_or_b32 exec_lo, exec_lo, s1
	v_ashrrev_i32_e32 v2, 31, v1
	s_add_u32 s2, s2, 1
	s_addc_u32 s3, s3, 0
	s_delay_alu instid0(SALU_CYCLE_1) | instskip(NEXT) | instid1(VALU_DEP_2)
	v_cmp_ge_u64_e64 s1, s[2:3], s[6:7]
	v_lshlrev_b64 v[2:3], 2, v[1:2]
	v_add_nc_u32_e32 v1, s12, v1
	s_delay_alu instid0(VALU_DEP_2) | instskip(NEXT) | instid1(VALU_DEP_3)
	v_add_co_u32 v2, vcc_lo, s18, v2
	v_add_co_ci_u32_e32 v3, vcc_lo, s19, v3, vcc_lo
	s_and_b32 vcc_lo, exec_lo, s1
	global_store_b32 v[2:3], v6, off
	s_cbranch_vccnz .LBB16_16
.LBB16_12:                              ; =>This Loop Header: Depth=1
                                        ;     Child Loop BB16_14 Depth 2
	v_mov_b32_e32 v6, 0
	s_delay_alu instid0(VALU_DEP_2)
	s_and_saveexec_b32 s1, s0
	s_cbranch_execz .LBB16_11
; %bb.13:                               ;   in Loop: Header=BB16_12 Depth=1
	s_delay_alu instid0(VALU_DEP_1) | instskip(SKIP_2) | instid1(VALU_DEP_2)
	v_mad_u64_u32 v[6:7], null, s2, s8, v[5:6]
	s_mov_b32 s9, 0
	v_mov_b32_e32 v7, v0
	v_mad_u64_u32 v[2:3], null, v6, s10, v[0:1]
	v_mov_b32_e32 v6, 0
.LBB16_14:                              ;   Parent Loop BB16_12 Depth=1
                                        ; =>  This Inner Loop Header: Depth=2
	s_delay_alu instid0(VALU_DEP_2) | instskip(NEXT) | instid1(VALU_DEP_4)
	v_ashrrev_i32_e32 v3, 31, v2
	v_add_nc_u32_e32 v7, 1, v7
	s_delay_alu instid0(VALU_DEP_2) | instskip(SKIP_1) | instid1(VALU_DEP_2)
	v_lshlrev_b64 v[8:9], 2, v[2:3]
	v_add_nc_u32_e32 v2, 1, v2
	v_add_co_u32 v8, vcc_lo, s4, v8
	s_delay_alu instid0(VALU_DEP_3)
	v_add_co_ci_u32_e32 v9, vcc_lo, s5, v9, vcc_lo
	v_cmp_ge_i32_e32 vcc_lo, v7, v4
	global_load_b32 v3, v[8:9], off
	s_or_b32 s9, vcc_lo, s9
	s_waitcnt vmcnt(0)
	v_add_f32_e32 v6, v6, v3
	s_and_not1_b32 exec_lo, exec_lo, s9
	s_cbranch_execnz .LBB16_14
; %bb.15:                               ;   in Loop: Header=BB16_12 Depth=1
	s_or_b32 exec_lo, exec_lo, s9
	s_branch .LBB16_11
.LBB16_16:
	s_set_inst_prefetch_distance 0x2
	s_nop 0
	s_sendmsg sendmsg(MSG_DEALLOC_VGPRS)
	s_endpgm
	.section	.rodata,"a",@progbits
	.p2align	6, 0x0
	.amdhsa_kernel _ZN2at6native12_GLOBAL__N_137upsample_nearest1d_backward_out_frameIffXadL_ZNS0_46nearest_neighbor_exact_bw_compute_source_indexEfiiEEEEvPKT_mmmmPS3_f
		.amdhsa_group_segment_fixed_size 0
		.amdhsa_private_segment_fixed_size 0
		.amdhsa_kernarg_size 312
		.amdhsa_user_sgpr_count 15
		.amdhsa_user_sgpr_dispatch_ptr 0
		.amdhsa_user_sgpr_queue_ptr 0
		.amdhsa_user_sgpr_kernarg_segment_ptr 1
		.amdhsa_user_sgpr_dispatch_id 0
		.amdhsa_user_sgpr_private_segment_size 0
		.amdhsa_wavefront_size32 1
		.amdhsa_uses_dynamic_stack 0
		.amdhsa_enable_private_segment 0
		.amdhsa_system_sgpr_workgroup_id_x 1
		.amdhsa_system_sgpr_workgroup_id_y 0
		.amdhsa_system_sgpr_workgroup_id_z 0
		.amdhsa_system_sgpr_workgroup_info 0
		.amdhsa_system_vgpr_workitem_id 0
		.amdhsa_next_free_vgpr 12
		.amdhsa_next_free_sgpr 20
		.amdhsa_reserve_vcc 1
		.amdhsa_float_round_mode_32 0
		.amdhsa_float_round_mode_16_64 0
		.amdhsa_float_denorm_mode_32 3
		.amdhsa_float_denorm_mode_16_64 3
		.amdhsa_dx10_clamp 1
		.amdhsa_ieee_mode 1
		.amdhsa_fp16_overflow 0
		.amdhsa_workgroup_processor_mode 1
		.amdhsa_memory_ordered 1
		.amdhsa_forward_progress 0
		.amdhsa_shared_vgpr_count 0
		.amdhsa_exception_fp_ieee_invalid_op 0
		.amdhsa_exception_fp_denorm_src 0
		.amdhsa_exception_fp_ieee_div_zero 0
		.amdhsa_exception_fp_ieee_overflow 0
		.amdhsa_exception_fp_ieee_underflow 0
		.amdhsa_exception_fp_ieee_inexact 0
		.amdhsa_exception_int_div_zero 0
	.end_amdhsa_kernel
	.section	.text._ZN2at6native12_GLOBAL__N_137upsample_nearest1d_backward_out_frameIffXadL_ZNS0_46nearest_neighbor_exact_bw_compute_source_indexEfiiEEEEvPKT_mmmmPS3_f,"axG",@progbits,_ZN2at6native12_GLOBAL__N_137upsample_nearest1d_backward_out_frameIffXadL_ZNS0_46nearest_neighbor_exact_bw_compute_source_indexEfiiEEEEvPKT_mmmmPS3_f,comdat
.Lfunc_end16:
	.size	_ZN2at6native12_GLOBAL__N_137upsample_nearest1d_backward_out_frameIffXadL_ZNS0_46nearest_neighbor_exact_bw_compute_source_indexEfiiEEEEvPKT_mmmmPS3_f, .Lfunc_end16-_ZN2at6native12_GLOBAL__N_137upsample_nearest1d_backward_out_frameIffXadL_ZNS0_46nearest_neighbor_exact_bw_compute_source_indexEfiiEEEEvPKT_mmmmPS3_f
                                        ; -- End function
	.section	.AMDGPU.csdata,"",@progbits
; Kernel info:
; codeLenInByte = 2248
; NumSgprs: 22
; NumVgprs: 12
; ScratchSize: 0
; MemoryBound: 0
; FloatMode: 240
; IeeeMode: 1
; LDSByteSize: 0 bytes/workgroup (compile time only)
; SGPRBlocks: 2
; VGPRBlocks: 1
; NumSGPRsForWavesPerEU: 22
; NumVGPRsForWavesPerEU: 12
; Occupancy: 16
; WaveLimiterHint : 0
; COMPUTE_PGM_RSRC2:SCRATCH_EN: 0
; COMPUTE_PGM_RSRC2:USER_SGPR: 15
; COMPUTE_PGM_RSRC2:TRAP_HANDLER: 0
; COMPUTE_PGM_RSRC2:TGID_X_EN: 1
; COMPUTE_PGM_RSRC2:TGID_Y_EN: 0
; COMPUTE_PGM_RSRC2:TGID_Z_EN: 0
; COMPUTE_PGM_RSRC2:TIDIG_COMP_CNT: 0
	.section	.text._ZN2at6native12_GLOBAL__N_137upsample_nearest1d_backward_out_frameIN3c104HalfEfXadL_ZNS0_46nearest_neighbor_exact_bw_compute_source_indexEfiiEEEEvPKT_mmmmPS5_f,"axG",@progbits,_ZN2at6native12_GLOBAL__N_137upsample_nearest1d_backward_out_frameIN3c104HalfEfXadL_ZNS0_46nearest_neighbor_exact_bw_compute_source_indexEfiiEEEEvPKT_mmmmPS5_f,comdat
	.globl	_ZN2at6native12_GLOBAL__N_137upsample_nearest1d_backward_out_frameIN3c104HalfEfXadL_ZNS0_46nearest_neighbor_exact_bw_compute_source_indexEfiiEEEEvPKT_mmmmPS5_f ; -- Begin function _ZN2at6native12_GLOBAL__N_137upsample_nearest1d_backward_out_frameIN3c104HalfEfXadL_ZNS0_46nearest_neighbor_exact_bw_compute_source_indexEfiiEEEEvPKT_mmmmPS5_f
	.p2align	8
	.type	_ZN2at6native12_GLOBAL__N_137upsample_nearest1d_backward_out_frameIN3c104HalfEfXadL_ZNS0_46nearest_neighbor_exact_bw_compute_source_indexEfiiEEEEvPKT_mmmmPS5_f,@function
_ZN2at6native12_GLOBAL__N_137upsample_nearest1d_backward_out_frameIN3c104HalfEfXadL_ZNS0_46nearest_neighbor_exact_bw_compute_source_indexEfiiEEEEvPKT_mmmmPS5_f: ; @_ZN2at6native12_GLOBAL__N_137upsample_nearest1d_backward_out_frameIN3c104HalfEfXadL_ZNS0_46nearest_neighbor_exact_bw_compute_source_indexEfiiEEEEvPKT_mmmmPS5_f
; %bb.0:
	s_clause 0x2
	s_load_b32 s2, s[0:1], 0x44
	s_load_b128 s[16:19], s[0:1], 0x20
	s_load_b256 s[4:11], s[0:1], 0x0
	s_waitcnt lgkmcnt(0)
	s_and_b32 s2, s2, 0xffff
	s_delay_alu instid0(SALU_CYCLE_1)
	v_mad_u64_u32 v[1:2], null, s15, s2, v[0:1]
	s_mul_i32 s2, s16, s9
	s_mul_hi_u32 s3, s16, s8
	s_mul_i32 s12, s16, s8
	s_add_i32 s2, s3, s2
	s_mul_i32 s3, s17, s8
	s_delay_alu instid0(SALU_CYCLE_1) | instskip(NEXT) | instid1(VALU_DEP_1)
	s_add_i32 s13, s2, s3
	v_ashrrev_i32_e32 v2, 31, v1
	s_mov_b32 s2, exec_lo
	s_delay_alu instid0(VALU_DEP_1)
	v_cmpx_gt_u64_e64 s[12:13], v[1:2]
	s_cbranch_execz .LBB17_16
; %bb.1:
	v_or_b32_e32 v4, s17, v2
	v_mov_b32_e32 v3, 0
	s_delay_alu instid0(VALU_DEP_1) | instskip(SKIP_1) | instid1(SALU_CYCLE_1)
	v_cmp_ne_u64_e32 vcc_lo, 0, v[3:4]
                                        ; implicit-def: $vgpr3_vgpr4
	s_and_saveexec_b32 s2, vcc_lo
	s_xor_b32 s3, exec_lo, s2
	s_cbranch_execz .LBB17_3
; %bb.2:
	v_cvt_f32_u32_e32 v0, s16
	v_cvt_f32_u32_e32 v3, s17
	s_sub_u32 s2, 0, s16
	s_subb_u32 s11, 0, s17
	s_delay_alu instid0(VALU_DEP_1) | instskip(NEXT) | instid1(VALU_DEP_1)
	v_fmamk_f32 v0, v3, 0x4f800000, v0
	v_rcp_f32_e32 v0, v0
	s_waitcnt_depctr 0xfff
	v_mul_f32_e32 v0, 0x5f7ffffc, v0
	s_delay_alu instid0(VALU_DEP_1) | instskip(NEXT) | instid1(VALU_DEP_1)
	v_mul_f32_e32 v3, 0x2f800000, v0
	v_trunc_f32_e32 v3, v3
	s_delay_alu instid0(VALU_DEP_1) | instskip(SKIP_1) | instid1(VALU_DEP_2)
	v_fmamk_f32 v0, v3, 0xcf800000, v0
	v_cvt_u32_f32_e32 v3, v3
	v_cvt_u32_f32_e32 v0, v0
	s_delay_alu instid0(VALU_DEP_2) | instskip(NEXT) | instid1(VALU_DEP_2)
	v_mul_lo_u32 v4, s2, v3
	v_mul_hi_u32 v5, s2, v0
	v_mul_lo_u32 v6, s11, v0
	s_delay_alu instid0(VALU_DEP_2) | instskip(SKIP_1) | instid1(VALU_DEP_2)
	v_add_nc_u32_e32 v4, v5, v4
	v_mul_lo_u32 v5, s2, v0
	v_add_nc_u32_e32 v4, v4, v6
	s_delay_alu instid0(VALU_DEP_2) | instskip(NEXT) | instid1(VALU_DEP_2)
	v_mul_hi_u32 v6, v0, v5
	v_mul_lo_u32 v7, v0, v4
	v_mul_hi_u32 v8, v0, v4
	v_mul_hi_u32 v9, v3, v5
	v_mul_lo_u32 v5, v3, v5
	v_mul_hi_u32 v10, v3, v4
	v_mul_lo_u32 v4, v3, v4
	v_add_co_u32 v6, vcc_lo, v6, v7
	v_add_co_ci_u32_e32 v7, vcc_lo, 0, v8, vcc_lo
	s_delay_alu instid0(VALU_DEP_2) | instskip(NEXT) | instid1(VALU_DEP_2)
	v_add_co_u32 v5, vcc_lo, v6, v5
	v_add_co_ci_u32_e32 v5, vcc_lo, v7, v9, vcc_lo
	v_add_co_ci_u32_e32 v6, vcc_lo, 0, v10, vcc_lo
	s_delay_alu instid0(VALU_DEP_2) | instskip(NEXT) | instid1(VALU_DEP_2)
	v_add_co_u32 v4, vcc_lo, v5, v4
	v_add_co_ci_u32_e32 v5, vcc_lo, 0, v6, vcc_lo
	s_delay_alu instid0(VALU_DEP_2) | instskip(NEXT) | instid1(VALU_DEP_2)
	v_add_co_u32 v0, vcc_lo, v0, v4
	v_add_co_ci_u32_e32 v3, vcc_lo, v3, v5, vcc_lo
	s_delay_alu instid0(VALU_DEP_2) | instskip(SKIP_1) | instid1(VALU_DEP_3)
	v_mul_hi_u32 v4, s2, v0
	v_mul_lo_u32 v6, s11, v0
	v_mul_lo_u32 v5, s2, v3
	s_delay_alu instid0(VALU_DEP_1) | instskip(SKIP_1) | instid1(VALU_DEP_2)
	v_add_nc_u32_e32 v4, v4, v5
	v_mul_lo_u32 v5, s2, v0
	v_add_nc_u32_e32 v4, v4, v6
	s_delay_alu instid0(VALU_DEP_2) | instskip(NEXT) | instid1(VALU_DEP_2)
	v_mul_hi_u32 v6, v0, v5
	v_mul_lo_u32 v7, v0, v4
	v_mul_hi_u32 v8, v0, v4
	v_mul_hi_u32 v9, v3, v5
	v_mul_lo_u32 v5, v3, v5
	v_mul_hi_u32 v10, v3, v4
	v_mul_lo_u32 v4, v3, v4
	v_add_co_u32 v6, vcc_lo, v6, v7
	v_add_co_ci_u32_e32 v7, vcc_lo, 0, v8, vcc_lo
	s_delay_alu instid0(VALU_DEP_2) | instskip(NEXT) | instid1(VALU_DEP_2)
	v_add_co_u32 v5, vcc_lo, v6, v5
	v_add_co_ci_u32_e32 v5, vcc_lo, v7, v9, vcc_lo
	v_add_co_ci_u32_e32 v6, vcc_lo, 0, v10, vcc_lo
	s_delay_alu instid0(VALU_DEP_2) | instskip(NEXT) | instid1(VALU_DEP_2)
	v_add_co_u32 v4, vcc_lo, v5, v4
	v_add_co_ci_u32_e32 v5, vcc_lo, 0, v6, vcc_lo
	s_delay_alu instid0(VALU_DEP_2) | instskip(NEXT) | instid1(VALU_DEP_2)
	v_add_co_u32 v0, vcc_lo, v0, v4
	v_add_co_ci_u32_e32 v9, vcc_lo, v3, v5, vcc_lo
	s_delay_alu instid0(VALU_DEP_2) | instskip(SKIP_1) | instid1(VALU_DEP_3)
	v_mul_hi_u32 v10, v1, v0
	v_mad_u64_u32 v[5:6], null, v2, v0, 0
	v_mad_u64_u32 v[3:4], null, v1, v9, 0
	;; [unrolled: 1-line block ×3, first 2 shown]
	s_delay_alu instid0(VALU_DEP_2) | instskip(NEXT) | instid1(VALU_DEP_3)
	v_add_co_u32 v0, vcc_lo, v10, v3
	v_add_co_ci_u32_e32 v3, vcc_lo, 0, v4, vcc_lo
	s_delay_alu instid0(VALU_DEP_2) | instskip(NEXT) | instid1(VALU_DEP_2)
	v_add_co_u32 v0, vcc_lo, v0, v5
	v_add_co_ci_u32_e32 v0, vcc_lo, v3, v6, vcc_lo
	v_add_co_ci_u32_e32 v3, vcc_lo, 0, v8, vcc_lo
	s_delay_alu instid0(VALU_DEP_2) | instskip(NEXT) | instid1(VALU_DEP_2)
	v_add_co_u32 v0, vcc_lo, v0, v7
	v_add_co_ci_u32_e32 v5, vcc_lo, 0, v3, vcc_lo
	s_delay_alu instid0(VALU_DEP_2) | instskip(SKIP_1) | instid1(VALU_DEP_3)
	v_mul_lo_u32 v6, s17, v0
	v_mad_u64_u32 v[3:4], null, s16, v0, 0
	v_mul_lo_u32 v7, s16, v5
	s_delay_alu instid0(VALU_DEP_2) | instskip(NEXT) | instid1(VALU_DEP_2)
	v_sub_co_u32 v3, vcc_lo, v1, v3
	v_add3_u32 v4, v4, v7, v6
	s_delay_alu instid0(VALU_DEP_1) | instskip(NEXT) | instid1(VALU_DEP_1)
	v_sub_nc_u32_e32 v6, v2, v4
	v_subrev_co_ci_u32_e64 v6, s2, s17, v6, vcc_lo
	v_add_co_u32 v7, s2, v0, 2
	s_delay_alu instid0(VALU_DEP_1) | instskip(SKIP_3) | instid1(VALU_DEP_3)
	v_add_co_ci_u32_e64 v8, s2, 0, v5, s2
	v_sub_co_u32 v9, s2, v3, s16
	v_sub_co_ci_u32_e32 v2, vcc_lo, v2, v4, vcc_lo
	v_subrev_co_ci_u32_e64 v6, s2, 0, v6, s2
	v_cmp_le_u32_e32 vcc_lo, s16, v9
	s_delay_alu instid0(VALU_DEP_3) | instskip(SKIP_1) | instid1(VALU_DEP_4)
	v_cmp_eq_u32_e64 s2, s17, v2
	v_cndmask_b32_e64 v4, 0, -1, vcc_lo
	v_cmp_le_u32_e32 vcc_lo, s17, v6
	v_cndmask_b32_e64 v9, 0, -1, vcc_lo
	v_cmp_le_u32_e32 vcc_lo, s16, v3
	;; [unrolled: 2-line block ×3, first 2 shown]
	v_cndmask_b32_e64 v10, 0, -1, vcc_lo
	v_cmp_eq_u32_e32 vcc_lo, s17, v6
	s_delay_alu instid0(VALU_DEP_2) | instskip(SKIP_3) | instid1(VALU_DEP_3)
	v_cndmask_b32_e64 v2, v10, v3, s2
	v_cndmask_b32_e32 v4, v9, v4, vcc_lo
	v_add_co_u32 v6, vcc_lo, v0, 1
	v_add_co_ci_u32_e32 v9, vcc_lo, 0, v5, vcc_lo
	v_cmp_ne_u32_e32 vcc_lo, 0, v4
	s_delay_alu instid0(VALU_DEP_2) | instskip(SKIP_1) | instid1(VALU_DEP_2)
	v_dual_cndmask_b32 v3, v9, v8 :: v_dual_cndmask_b32 v6, v6, v7
	v_cmp_ne_u32_e32 vcc_lo, 0, v2
	v_dual_cndmask_b32 v4, v5, v3 :: v_dual_cndmask_b32 v3, v0, v6
.LBB17_3:
	s_and_not1_saveexec_b32 s2, s3
	s_cbranch_execz .LBB17_5
; %bb.4:
	v_cvt_f32_u32_e32 v0, s16
	s_sub_i32 s3, 0, s16
	s_delay_alu instid0(VALU_DEP_1) | instskip(SKIP_2) | instid1(VALU_DEP_1)
	v_rcp_iflag_f32_e32 v0, v0
	s_waitcnt_depctr 0xfff
	v_mul_f32_e32 v0, 0x4f7ffffe, v0
	v_cvt_u32_f32_e32 v0, v0
	s_delay_alu instid0(VALU_DEP_1) | instskip(NEXT) | instid1(VALU_DEP_1)
	v_mul_lo_u32 v2, s3, v0
	v_mul_hi_u32 v2, v0, v2
	s_delay_alu instid0(VALU_DEP_1) | instskip(NEXT) | instid1(VALU_DEP_1)
	v_add_nc_u32_e32 v0, v0, v2
	v_mul_hi_u32 v0, v1, v0
	s_delay_alu instid0(VALU_DEP_1) | instskip(SKIP_1) | instid1(VALU_DEP_2)
	v_mul_lo_u32 v2, v0, s16
	v_add_nc_u32_e32 v3, 1, v0
	v_sub_nc_u32_e32 v2, v1, v2
	s_delay_alu instid0(VALU_DEP_1) | instskip(SKIP_1) | instid1(VALU_DEP_2)
	v_subrev_nc_u32_e32 v4, s16, v2
	v_cmp_le_u32_e32 vcc_lo, s16, v2
	v_cndmask_b32_e32 v2, v2, v4, vcc_lo
	v_mov_b32_e32 v4, 0
	v_cndmask_b32_e32 v0, v0, v3, vcc_lo
	s_delay_alu instid0(VALU_DEP_3) | instskip(NEXT) | instid1(VALU_DEP_2)
	v_cmp_le_u32_e32 vcc_lo, s16, v2
	v_add_nc_u32_e32 v3, 1, v0
	s_delay_alu instid0(VALU_DEP_1)
	v_cndmask_b32_e32 v3, v0, v3, vcc_lo
.LBB17_5:
	s_or_b32 exec_lo, exec_lo, s2
	s_delay_alu instid0(VALU_DEP_1) | instskip(SKIP_1) | instid1(VALU_DEP_1)
	v_or_b32_e32 v6, s9, v4
	v_mov_b32_e32 v5, 0
	v_cmp_ne_u64_e32 vcc_lo, 0, v[5:6]
                                        ; implicit-def: $vgpr5_vgpr6
	s_and_saveexec_b32 s2, vcc_lo
	s_delay_alu instid0(SALU_CYCLE_1)
	s_xor_b32 s3, exec_lo, s2
	s_cbranch_execnz .LBB17_8
; %bb.6:
	s_and_not1_saveexec_b32 s2, s3
	s_cbranch_execnz .LBB17_9
.LBB17_7:
	s_or_b32 exec_lo, exec_lo, s2
	s_cmp_eq_u64 s[6:7], 0
	s_mov_b64 s[2:3], 0
	s_cbranch_scc0 .LBB17_10
	s_branch .LBB17_16
.LBB17_8:
	v_cvt_f32_u32_e32 v0, s8
	v_cvt_f32_u32_e32 v2, s9
	s_sub_u32 s2, 0, s8
	s_subb_u32 s11, 0, s9
	s_delay_alu instid0(VALU_DEP_1) | instskip(NEXT) | instid1(VALU_DEP_1)
	v_fmamk_f32 v0, v2, 0x4f800000, v0
	v_rcp_f32_e32 v0, v0
	s_waitcnt_depctr 0xfff
	v_mul_f32_e32 v0, 0x5f7ffffc, v0
	s_delay_alu instid0(VALU_DEP_1) | instskip(NEXT) | instid1(VALU_DEP_1)
	v_mul_f32_e32 v2, 0x2f800000, v0
	v_trunc_f32_e32 v2, v2
	s_delay_alu instid0(VALU_DEP_1) | instskip(SKIP_1) | instid1(VALU_DEP_2)
	v_fmamk_f32 v0, v2, 0xcf800000, v0
	v_cvt_u32_f32_e32 v2, v2
	v_cvt_u32_f32_e32 v0, v0
	s_delay_alu instid0(VALU_DEP_2) | instskip(NEXT) | instid1(VALU_DEP_2)
	v_mul_lo_u32 v5, s2, v2
	v_mul_hi_u32 v6, s2, v0
	v_mul_lo_u32 v7, s11, v0
	s_delay_alu instid0(VALU_DEP_2) | instskip(SKIP_1) | instid1(VALU_DEP_2)
	v_add_nc_u32_e32 v5, v6, v5
	v_mul_lo_u32 v6, s2, v0
	v_add_nc_u32_e32 v5, v5, v7
	s_delay_alu instid0(VALU_DEP_2) | instskip(NEXT) | instid1(VALU_DEP_2)
	v_mul_hi_u32 v7, v0, v6
	v_mul_lo_u32 v8, v0, v5
	v_mul_hi_u32 v9, v0, v5
	v_mul_hi_u32 v10, v2, v6
	v_mul_lo_u32 v6, v2, v6
	v_mul_hi_u32 v11, v2, v5
	v_mul_lo_u32 v5, v2, v5
	v_add_co_u32 v7, vcc_lo, v7, v8
	v_add_co_ci_u32_e32 v8, vcc_lo, 0, v9, vcc_lo
	s_delay_alu instid0(VALU_DEP_2) | instskip(NEXT) | instid1(VALU_DEP_2)
	v_add_co_u32 v6, vcc_lo, v7, v6
	v_add_co_ci_u32_e32 v6, vcc_lo, v8, v10, vcc_lo
	v_add_co_ci_u32_e32 v7, vcc_lo, 0, v11, vcc_lo
	s_delay_alu instid0(VALU_DEP_2) | instskip(NEXT) | instid1(VALU_DEP_2)
	v_add_co_u32 v5, vcc_lo, v6, v5
	v_add_co_ci_u32_e32 v6, vcc_lo, 0, v7, vcc_lo
	s_delay_alu instid0(VALU_DEP_2) | instskip(NEXT) | instid1(VALU_DEP_2)
	v_add_co_u32 v0, vcc_lo, v0, v5
	v_add_co_ci_u32_e32 v2, vcc_lo, v2, v6, vcc_lo
	s_delay_alu instid0(VALU_DEP_2) | instskip(SKIP_1) | instid1(VALU_DEP_3)
	v_mul_hi_u32 v5, s2, v0
	v_mul_lo_u32 v7, s11, v0
	v_mul_lo_u32 v6, s2, v2
	s_delay_alu instid0(VALU_DEP_1) | instskip(SKIP_1) | instid1(VALU_DEP_2)
	v_add_nc_u32_e32 v5, v5, v6
	v_mul_lo_u32 v6, s2, v0
	v_add_nc_u32_e32 v5, v5, v7
	s_delay_alu instid0(VALU_DEP_2) | instskip(NEXT) | instid1(VALU_DEP_2)
	v_mul_hi_u32 v7, v0, v6
	v_mul_lo_u32 v8, v0, v5
	v_mul_hi_u32 v9, v0, v5
	v_mul_hi_u32 v10, v2, v6
	v_mul_lo_u32 v6, v2, v6
	v_mul_hi_u32 v11, v2, v5
	v_mul_lo_u32 v5, v2, v5
	v_add_co_u32 v7, vcc_lo, v7, v8
	v_add_co_ci_u32_e32 v8, vcc_lo, 0, v9, vcc_lo
	s_delay_alu instid0(VALU_DEP_2) | instskip(NEXT) | instid1(VALU_DEP_2)
	v_add_co_u32 v6, vcc_lo, v7, v6
	v_add_co_ci_u32_e32 v6, vcc_lo, v8, v10, vcc_lo
	v_add_co_ci_u32_e32 v7, vcc_lo, 0, v11, vcc_lo
	s_delay_alu instid0(VALU_DEP_2) | instskip(NEXT) | instid1(VALU_DEP_2)
	v_add_co_u32 v5, vcc_lo, v6, v5
	v_add_co_ci_u32_e32 v6, vcc_lo, 0, v7, vcc_lo
	s_delay_alu instid0(VALU_DEP_2) | instskip(NEXT) | instid1(VALU_DEP_2)
	v_add_co_u32 v0, vcc_lo, v0, v5
	v_add_co_ci_u32_e32 v2, vcc_lo, v2, v6, vcc_lo
	s_delay_alu instid0(VALU_DEP_2) | instskip(SKIP_1) | instid1(VALU_DEP_3)
	v_mul_hi_u32 v11, v3, v0
	v_mad_u64_u32 v[7:8], null, v4, v0, 0
	v_mad_u64_u32 v[5:6], null, v3, v2, 0
	;; [unrolled: 1-line block ×3, first 2 shown]
	s_delay_alu instid0(VALU_DEP_2) | instskip(NEXT) | instid1(VALU_DEP_3)
	v_add_co_u32 v0, vcc_lo, v11, v5
	v_add_co_ci_u32_e32 v2, vcc_lo, 0, v6, vcc_lo
	s_delay_alu instid0(VALU_DEP_2) | instskip(NEXT) | instid1(VALU_DEP_2)
	v_add_co_u32 v0, vcc_lo, v0, v7
	v_add_co_ci_u32_e32 v0, vcc_lo, v2, v8, vcc_lo
	v_add_co_ci_u32_e32 v2, vcc_lo, 0, v10, vcc_lo
	s_delay_alu instid0(VALU_DEP_2) | instskip(NEXT) | instid1(VALU_DEP_2)
	v_add_co_u32 v0, vcc_lo, v0, v9
	v_add_co_ci_u32_e32 v2, vcc_lo, 0, v2, vcc_lo
	s_delay_alu instid0(VALU_DEP_2) | instskip(SKIP_1) | instid1(VALU_DEP_3)
	v_mul_lo_u32 v7, s9, v0
	v_mad_u64_u32 v[5:6], null, s8, v0, 0
	v_mul_lo_u32 v0, s8, v2
	s_delay_alu instid0(VALU_DEP_2) | instskip(NEXT) | instid1(VALU_DEP_2)
	v_sub_co_u32 v5, vcc_lo, v3, v5
	v_add3_u32 v0, v6, v0, v7
	s_delay_alu instid0(VALU_DEP_1) | instskip(NEXT) | instid1(VALU_DEP_1)
	v_sub_nc_u32_e32 v2, v4, v0
	v_subrev_co_ci_u32_e64 v2, s2, s9, v2, vcc_lo
	s_delay_alu instid0(VALU_DEP_4) | instskip(SKIP_1) | instid1(VALU_DEP_3)
	v_sub_co_u32 v6, s2, v5, s8
	v_sub_co_ci_u32_e32 v0, vcc_lo, v4, v0, vcc_lo
	v_subrev_co_ci_u32_e64 v2, s2, 0, v2, s2
	s_delay_alu instid0(VALU_DEP_3) | instskip(SKIP_1) | instid1(VALU_DEP_3)
	v_cmp_le_u32_e32 vcc_lo, s8, v6
	v_cndmask_b32_e64 v4, 0, -1, vcc_lo
	v_cmp_le_u32_e32 vcc_lo, s9, v2
	v_cndmask_b32_e64 v7, 0, -1, vcc_lo
	v_cmp_le_u32_e32 vcc_lo, s8, v5
	v_cndmask_b32_e64 v8, 0, -1, vcc_lo
	v_cmp_le_u32_e32 vcc_lo, s9, v0
	v_cndmask_b32_e64 v9, 0, -1, vcc_lo
	v_cmp_eq_u32_e32 vcc_lo, s9, v2
	v_cndmask_b32_e32 v2, v7, v4, vcc_lo
	v_sub_co_u32 v4, vcc_lo, v6, s8
	v_cmp_eq_u32_e32 vcc_lo, s9, v0
	v_cndmask_b32_e32 v0, v9, v8, vcc_lo
	s_delay_alu instid0(VALU_DEP_4) | instskip(NEXT) | instid1(VALU_DEP_4)
	v_cmp_ne_u32_e32 vcc_lo, 0, v2
	v_cndmask_b32_e32 v2, v6, v4, vcc_lo
	s_delay_alu instid0(VALU_DEP_3) | instskip(NEXT) | instid1(VALU_DEP_2)
	v_cmp_ne_u32_e32 vcc_lo, 0, v0
	v_cndmask_b32_e32 v5, v5, v2, vcc_lo
	s_and_not1_saveexec_b32 s2, s3
	s_cbranch_execz .LBB17_7
.LBB17_9:
	v_cvt_f32_u32_e32 v0, s8
	s_sub_i32 s3, 0, s8
	s_delay_alu instid0(VALU_DEP_1) | instskip(SKIP_2) | instid1(VALU_DEP_1)
	v_rcp_iflag_f32_e32 v0, v0
	s_waitcnt_depctr 0xfff
	v_mul_f32_e32 v0, 0x4f7ffffe, v0
	v_cvt_u32_f32_e32 v0, v0
	s_delay_alu instid0(VALU_DEP_1) | instskip(NEXT) | instid1(VALU_DEP_1)
	v_mul_lo_u32 v2, s3, v0
	v_mul_hi_u32 v2, v0, v2
	s_delay_alu instid0(VALU_DEP_1) | instskip(NEXT) | instid1(VALU_DEP_1)
	v_add_nc_u32_e32 v0, v0, v2
	v_mul_hi_u32 v0, v3, v0
	s_delay_alu instid0(VALU_DEP_1) | instskip(NEXT) | instid1(VALU_DEP_1)
	v_mul_lo_u32 v0, v0, s8
	v_sub_nc_u32_e32 v0, v3, v0
	s_delay_alu instid0(VALU_DEP_1) | instskip(SKIP_1) | instid1(VALU_DEP_2)
	v_subrev_nc_u32_e32 v2, s8, v0
	v_cmp_le_u32_e32 vcc_lo, s8, v0
	v_cndmask_b32_e32 v0, v0, v2, vcc_lo
	s_delay_alu instid0(VALU_DEP_1) | instskip(SKIP_1) | instid1(VALU_DEP_2)
	v_subrev_nc_u32_e32 v2, s8, v0
	v_cmp_le_u32_e32 vcc_lo, s8, v0
	v_cndmask_b32_e32 v5, v0, v2, vcc_lo
	s_or_b32 exec_lo, exec_lo, s2
	s_cmp_eq_u64 s[6:7], 0
	s_mov_b64 s[2:3], 0
	s_cbranch_scc1 .LBB17_16
.LBB17_10:
	v_mul_lo_u32 v0, v3, s16
	s_load_b32 s0, s[0:1], 0x30
	s_delay_alu instid0(VALU_DEP_1) | instskip(NEXT) | instid1(VALU_DEP_1)
	v_sub_nc_u32_e32 v0, v1, v0
	v_add_nc_u32_e32 v2, 1, v0
	v_cvt_f32_i32_e32 v0, v0
	s_delay_alu instid0(VALU_DEP_2) | instskip(SKIP_1) | instid1(VALU_DEP_2)
	v_cvt_f32_i32_e32 v2, v2
	s_waitcnt lgkmcnt(0)
	v_fma_f32 v0, v0, s0, -0.5
	s_delay_alu instid0(VALU_DEP_2) | instskip(NEXT) | instid1(VALU_DEP_2)
	v_fma_f32 v2, v2, s0, -0.5
	v_ceil_f32_e32 v0, v0
	s_delay_alu instid0(VALU_DEP_2) | instskip(NEXT) | instid1(VALU_DEP_2)
	v_ceil_f32_e32 v2, v2
	v_cvt_i32_f32_e32 v3, v0
	s_delay_alu instid0(VALU_DEP_2) | instskip(NEXT) | instid1(VALU_DEP_2)
	v_cvt_i32_f32_e32 v2, v2
	v_min_i32_e32 v0, s10, v3
	s_delay_alu instid0(VALU_DEP_2) | instskip(NEXT) | instid1(VALU_DEP_1)
	v_min_i32_e32 v4, s10, v2
	v_cmp_gt_i32_e64 s0, v4, v3
	s_set_inst_prefetch_distance 0x1
	s_branch .LBB17_12
	.p2align	6
.LBB17_11:                              ;   in Loop: Header=BB17_12 Depth=1
	s_or_b32 exec_lo, exec_lo, s1
	v_ashrrev_i32_e32 v2, 31, v1
	s_add_u32 s2, s2, 1
	s_addc_u32 s3, s3, 0
	v_cvt_f16_f32_e32 v6, v6
	v_cmp_ge_u64_e64 s1, s[2:3], s[6:7]
	v_lshlrev_b64 v[2:3], 1, v[1:2]
	v_add_nc_u32_e32 v1, s12, v1
	s_delay_alu instid0(VALU_DEP_2) | instskip(NEXT) | instid1(VALU_DEP_3)
	v_add_co_u32 v2, vcc_lo, s18, v2
	v_add_co_ci_u32_e32 v3, vcc_lo, s19, v3, vcc_lo
	s_and_b32 vcc_lo, exec_lo, s1
	global_store_b16 v[2:3], v6, off
	s_cbranch_vccnz .LBB17_16
.LBB17_12:                              ; =>This Loop Header: Depth=1
                                        ;     Child Loop BB17_14 Depth 2
	v_mov_b32_e32 v6, 0
	s_delay_alu instid0(VALU_DEP_2)
	s_and_saveexec_b32 s1, s0
	s_cbranch_execz .LBB17_11
; %bb.13:                               ;   in Loop: Header=BB17_12 Depth=1
	s_delay_alu instid0(VALU_DEP_1) | instskip(SKIP_2) | instid1(VALU_DEP_2)
	v_mad_u64_u32 v[6:7], null, s2, s8, v[5:6]
	s_mov_b32 s9, 0
	v_mov_b32_e32 v7, v0
	v_mad_u64_u32 v[2:3], null, v6, s10, v[0:1]
	v_mov_b32_e32 v6, 0
.LBB17_14:                              ;   Parent Loop BB17_12 Depth=1
                                        ; =>  This Inner Loop Header: Depth=2
	s_delay_alu instid0(VALU_DEP_2) | instskip(NEXT) | instid1(VALU_DEP_4)
	v_ashrrev_i32_e32 v3, 31, v2
	v_add_nc_u32_e32 v7, 1, v7
	s_delay_alu instid0(VALU_DEP_2) | instskip(SKIP_1) | instid1(VALU_DEP_2)
	v_lshlrev_b64 v[8:9], 1, v[2:3]
	v_add_nc_u32_e32 v2, 1, v2
	v_add_co_u32 v8, vcc_lo, s4, v8
	s_delay_alu instid0(VALU_DEP_3)
	v_add_co_ci_u32_e32 v9, vcc_lo, s5, v9, vcc_lo
	v_cmp_ge_i32_e32 vcc_lo, v7, v4
	global_load_u16 v3, v[8:9], off
	s_or_b32 s9, vcc_lo, s9
	s_waitcnt vmcnt(0)
	v_cvt_f32_f16_e32 v3, v3
	s_delay_alu instid0(VALU_DEP_1)
	v_add_f32_e32 v6, v6, v3
	s_and_not1_b32 exec_lo, exec_lo, s9
	s_cbranch_execnz .LBB17_14
; %bb.15:                               ;   in Loop: Header=BB17_12 Depth=1
	s_or_b32 exec_lo, exec_lo, s9
	s_branch .LBB17_11
.LBB17_16:
	s_set_inst_prefetch_distance 0x2
	s_nop 0
	s_sendmsg sendmsg(MSG_DEALLOC_VGPRS)
	s_endpgm
	.section	.rodata,"a",@progbits
	.p2align	6, 0x0
	.amdhsa_kernel _ZN2at6native12_GLOBAL__N_137upsample_nearest1d_backward_out_frameIN3c104HalfEfXadL_ZNS0_46nearest_neighbor_exact_bw_compute_source_indexEfiiEEEEvPKT_mmmmPS5_f
		.amdhsa_group_segment_fixed_size 0
		.amdhsa_private_segment_fixed_size 0
		.amdhsa_kernarg_size 312
		.amdhsa_user_sgpr_count 15
		.amdhsa_user_sgpr_dispatch_ptr 0
		.amdhsa_user_sgpr_queue_ptr 0
		.amdhsa_user_sgpr_kernarg_segment_ptr 1
		.amdhsa_user_sgpr_dispatch_id 0
		.amdhsa_user_sgpr_private_segment_size 0
		.amdhsa_wavefront_size32 1
		.amdhsa_uses_dynamic_stack 0
		.amdhsa_enable_private_segment 0
		.amdhsa_system_sgpr_workgroup_id_x 1
		.amdhsa_system_sgpr_workgroup_id_y 0
		.amdhsa_system_sgpr_workgroup_id_z 0
		.amdhsa_system_sgpr_workgroup_info 0
		.amdhsa_system_vgpr_workitem_id 0
		.amdhsa_next_free_vgpr 12
		.amdhsa_next_free_sgpr 20
		.amdhsa_reserve_vcc 1
		.amdhsa_float_round_mode_32 0
		.amdhsa_float_round_mode_16_64 0
		.amdhsa_float_denorm_mode_32 3
		.amdhsa_float_denorm_mode_16_64 3
		.amdhsa_dx10_clamp 1
		.amdhsa_ieee_mode 1
		.amdhsa_fp16_overflow 0
		.amdhsa_workgroup_processor_mode 1
		.amdhsa_memory_ordered 1
		.amdhsa_forward_progress 0
		.amdhsa_shared_vgpr_count 0
		.amdhsa_exception_fp_ieee_invalid_op 0
		.amdhsa_exception_fp_denorm_src 0
		.amdhsa_exception_fp_ieee_div_zero 0
		.amdhsa_exception_fp_ieee_overflow 0
		.amdhsa_exception_fp_ieee_underflow 0
		.amdhsa_exception_fp_ieee_inexact 0
		.amdhsa_exception_int_div_zero 0
	.end_amdhsa_kernel
	.section	.text._ZN2at6native12_GLOBAL__N_137upsample_nearest1d_backward_out_frameIN3c104HalfEfXadL_ZNS0_46nearest_neighbor_exact_bw_compute_source_indexEfiiEEEEvPKT_mmmmPS5_f,"axG",@progbits,_ZN2at6native12_GLOBAL__N_137upsample_nearest1d_backward_out_frameIN3c104HalfEfXadL_ZNS0_46nearest_neighbor_exact_bw_compute_source_indexEfiiEEEEvPKT_mmmmPS5_f,comdat
.Lfunc_end17:
	.size	_ZN2at6native12_GLOBAL__N_137upsample_nearest1d_backward_out_frameIN3c104HalfEfXadL_ZNS0_46nearest_neighbor_exact_bw_compute_source_indexEfiiEEEEvPKT_mmmmPS5_f, .Lfunc_end17-_ZN2at6native12_GLOBAL__N_137upsample_nearest1d_backward_out_frameIN3c104HalfEfXadL_ZNS0_46nearest_neighbor_exact_bw_compute_source_indexEfiiEEEEvPKT_mmmmPS5_f
                                        ; -- End function
	.section	.AMDGPU.csdata,"",@progbits
; Kernel info:
; codeLenInByte = 2256
; NumSgprs: 22
; NumVgprs: 12
; ScratchSize: 0
; MemoryBound: 0
; FloatMode: 240
; IeeeMode: 1
; LDSByteSize: 0 bytes/workgroup (compile time only)
; SGPRBlocks: 2
; VGPRBlocks: 1
; NumSGPRsForWavesPerEU: 22
; NumVGPRsForWavesPerEU: 12
; Occupancy: 16
; WaveLimiterHint : 0
; COMPUTE_PGM_RSRC2:SCRATCH_EN: 0
; COMPUTE_PGM_RSRC2:USER_SGPR: 15
; COMPUTE_PGM_RSRC2:TRAP_HANDLER: 0
; COMPUTE_PGM_RSRC2:TGID_X_EN: 1
; COMPUTE_PGM_RSRC2:TGID_Y_EN: 0
; COMPUTE_PGM_RSRC2:TGID_Z_EN: 0
; COMPUTE_PGM_RSRC2:TIDIG_COMP_CNT: 0
	.section	.text._ZN2at6native12_GLOBAL__N_137upsample_nearest1d_backward_out_frameIN3c108BFloat16EfXadL_ZNS0_46nearest_neighbor_exact_bw_compute_source_indexEfiiEEEEvPKT_mmmmPS5_f,"axG",@progbits,_ZN2at6native12_GLOBAL__N_137upsample_nearest1d_backward_out_frameIN3c108BFloat16EfXadL_ZNS0_46nearest_neighbor_exact_bw_compute_source_indexEfiiEEEEvPKT_mmmmPS5_f,comdat
	.globl	_ZN2at6native12_GLOBAL__N_137upsample_nearest1d_backward_out_frameIN3c108BFloat16EfXadL_ZNS0_46nearest_neighbor_exact_bw_compute_source_indexEfiiEEEEvPKT_mmmmPS5_f ; -- Begin function _ZN2at6native12_GLOBAL__N_137upsample_nearest1d_backward_out_frameIN3c108BFloat16EfXadL_ZNS0_46nearest_neighbor_exact_bw_compute_source_indexEfiiEEEEvPKT_mmmmPS5_f
	.p2align	8
	.type	_ZN2at6native12_GLOBAL__N_137upsample_nearest1d_backward_out_frameIN3c108BFloat16EfXadL_ZNS0_46nearest_neighbor_exact_bw_compute_source_indexEfiiEEEEvPKT_mmmmPS5_f,@function
_ZN2at6native12_GLOBAL__N_137upsample_nearest1d_backward_out_frameIN3c108BFloat16EfXadL_ZNS0_46nearest_neighbor_exact_bw_compute_source_indexEfiiEEEEvPKT_mmmmPS5_f: ; @_ZN2at6native12_GLOBAL__N_137upsample_nearest1d_backward_out_frameIN3c108BFloat16EfXadL_ZNS0_46nearest_neighbor_exact_bw_compute_source_indexEfiiEEEEvPKT_mmmmPS5_f
; %bb.0:
	s_clause 0x2
	s_load_b32 s2, s[0:1], 0x44
	s_load_b128 s[16:19], s[0:1], 0x20
	s_load_b256 s[4:11], s[0:1], 0x0
	s_waitcnt lgkmcnt(0)
	s_and_b32 s2, s2, 0xffff
	s_delay_alu instid0(SALU_CYCLE_1)
	v_mad_u64_u32 v[1:2], null, s15, s2, v[0:1]
	s_mul_i32 s2, s16, s9
	s_mul_hi_u32 s3, s16, s8
	s_mul_i32 s12, s16, s8
	s_add_i32 s2, s3, s2
	s_mul_i32 s3, s17, s8
	s_delay_alu instid0(SALU_CYCLE_1) | instskip(NEXT) | instid1(VALU_DEP_1)
	s_add_i32 s13, s2, s3
	v_ashrrev_i32_e32 v2, 31, v1
	s_mov_b32 s2, exec_lo
	s_delay_alu instid0(VALU_DEP_1)
	v_cmpx_gt_u64_e64 s[12:13], v[1:2]
	s_cbranch_execz .LBB18_16
; %bb.1:
	v_or_b32_e32 v4, s17, v2
	v_mov_b32_e32 v3, 0
	s_delay_alu instid0(VALU_DEP_1) | instskip(SKIP_1) | instid1(SALU_CYCLE_1)
	v_cmp_ne_u64_e32 vcc_lo, 0, v[3:4]
                                        ; implicit-def: $vgpr3_vgpr4
	s_and_saveexec_b32 s2, vcc_lo
	s_xor_b32 s3, exec_lo, s2
	s_cbranch_execz .LBB18_3
; %bb.2:
	v_cvt_f32_u32_e32 v0, s16
	v_cvt_f32_u32_e32 v3, s17
	s_sub_u32 s2, 0, s16
	s_subb_u32 s11, 0, s17
	s_delay_alu instid0(VALU_DEP_1) | instskip(NEXT) | instid1(VALU_DEP_1)
	v_fmamk_f32 v0, v3, 0x4f800000, v0
	v_rcp_f32_e32 v0, v0
	s_waitcnt_depctr 0xfff
	v_mul_f32_e32 v0, 0x5f7ffffc, v0
	s_delay_alu instid0(VALU_DEP_1) | instskip(NEXT) | instid1(VALU_DEP_1)
	v_mul_f32_e32 v3, 0x2f800000, v0
	v_trunc_f32_e32 v3, v3
	s_delay_alu instid0(VALU_DEP_1) | instskip(SKIP_1) | instid1(VALU_DEP_2)
	v_fmamk_f32 v0, v3, 0xcf800000, v0
	v_cvt_u32_f32_e32 v3, v3
	v_cvt_u32_f32_e32 v0, v0
	s_delay_alu instid0(VALU_DEP_2) | instskip(NEXT) | instid1(VALU_DEP_2)
	v_mul_lo_u32 v4, s2, v3
	v_mul_hi_u32 v5, s2, v0
	v_mul_lo_u32 v6, s11, v0
	s_delay_alu instid0(VALU_DEP_2) | instskip(SKIP_1) | instid1(VALU_DEP_2)
	v_add_nc_u32_e32 v4, v5, v4
	v_mul_lo_u32 v5, s2, v0
	v_add_nc_u32_e32 v4, v4, v6
	s_delay_alu instid0(VALU_DEP_2) | instskip(NEXT) | instid1(VALU_DEP_2)
	v_mul_hi_u32 v6, v0, v5
	v_mul_lo_u32 v7, v0, v4
	v_mul_hi_u32 v8, v0, v4
	v_mul_hi_u32 v9, v3, v5
	v_mul_lo_u32 v5, v3, v5
	v_mul_hi_u32 v10, v3, v4
	v_mul_lo_u32 v4, v3, v4
	v_add_co_u32 v6, vcc_lo, v6, v7
	v_add_co_ci_u32_e32 v7, vcc_lo, 0, v8, vcc_lo
	s_delay_alu instid0(VALU_DEP_2) | instskip(NEXT) | instid1(VALU_DEP_2)
	v_add_co_u32 v5, vcc_lo, v6, v5
	v_add_co_ci_u32_e32 v5, vcc_lo, v7, v9, vcc_lo
	v_add_co_ci_u32_e32 v6, vcc_lo, 0, v10, vcc_lo
	s_delay_alu instid0(VALU_DEP_2) | instskip(NEXT) | instid1(VALU_DEP_2)
	v_add_co_u32 v4, vcc_lo, v5, v4
	v_add_co_ci_u32_e32 v5, vcc_lo, 0, v6, vcc_lo
	s_delay_alu instid0(VALU_DEP_2) | instskip(NEXT) | instid1(VALU_DEP_2)
	v_add_co_u32 v0, vcc_lo, v0, v4
	v_add_co_ci_u32_e32 v3, vcc_lo, v3, v5, vcc_lo
	s_delay_alu instid0(VALU_DEP_2) | instskip(SKIP_1) | instid1(VALU_DEP_3)
	v_mul_hi_u32 v4, s2, v0
	v_mul_lo_u32 v6, s11, v0
	v_mul_lo_u32 v5, s2, v3
	s_delay_alu instid0(VALU_DEP_1) | instskip(SKIP_1) | instid1(VALU_DEP_2)
	v_add_nc_u32_e32 v4, v4, v5
	v_mul_lo_u32 v5, s2, v0
	v_add_nc_u32_e32 v4, v4, v6
	s_delay_alu instid0(VALU_DEP_2) | instskip(NEXT) | instid1(VALU_DEP_2)
	v_mul_hi_u32 v6, v0, v5
	v_mul_lo_u32 v7, v0, v4
	v_mul_hi_u32 v8, v0, v4
	v_mul_hi_u32 v9, v3, v5
	v_mul_lo_u32 v5, v3, v5
	v_mul_hi_u32 v10, v3, v4
	v_mul_lo_u32 v4, v3, v4
	v_add_co_u32 v6, vcc_lo, v6, v7
	v_add_co_ci_u32_e32 v7, vcc_lo, 0, v8, vcc_lo
	s_delay_alu instid0(VALU_DEP_2) | instskip(NEXT) | instid1(VALU_DEP_2)
	v_add_co_u32 v5, vcc_lo, v6, v5
	v_add_co_ci_u32_e32 v5, vcc_lo, v7, v9, vcc_lo
	v_add_co_ci_u32_e32 v6, vcc_lo, 0, v10, vcc_lo
	s_delay_alu instid0(VALU_DEP_2) | instskip(NEXT) | instid1(VALU_DEP_2)
	v_add_co_u32 v4, vcc_lo, v5, v4
	v_add_co_ci_u32_e32 v5, vcc_lo, 0, v6, vcc_lo
	s_delay_alu instid0(VALU_DEP_2) | instskip(NEXT) | instid1(VALU_DEP_2)
	v_add_co_u32 v0, vcc_lo, v0, v4
	v_add_co_ci_u32_e32 v9, vcc_lo, v3, v5, vcc_lo
	s_delay_alu instid0(VALU_DEP_2) | instskip(SKIP_1) | instid1(VALU_DEP_3)
	v_mul_hi_u32 v10, v1, v0
	v_mad_u64_u32 v[5:6], null, v2, v0, 0
	v_mad_u64_u32 v[3:4], null, v1, v9, 0
	;; [unrolled: 1-line block ×3, first 2 shown]
	s_delay_alu instid0(VALU_DEP_2) | instskip(NEXT) | instid1(VALU_DEP_3)
	v_add_co_u32 v0, vcc_lo, v10, v3
	v_add_co_ci_u32_e32 v3, vcc_lo, 0, v4, vcc_lo
	s_delay_alu instid0(VALU_DEP_2) | instskip(NEXT) | instid1(VALU_DEP_2)
	v_add_co_u32 v0, vcc_lo, v0, v5
	v_add_co_ci_u32_e32 v0, vcc_lo, v3, v6, vcc_lo
	v_add_co_ci_u32_e32 v3, vcc_lo, 0, v8, vcc_lo
	s_delay_alu instid0(VALU_DEP_2) | instskip(NEXT) | instid1(VALU_DEP_2)
	v_add_co_u32 v0, vcc_lo, v0, v7
	v_add_co_ci_u32_e32 v5, vcc_lo, 0, v3, vcc_lo
	s_delay_alu instid0(VALU_DEP_2) | instskip(SKIP_1) | instid1(VALU_DEP_3)
	v_mul_lo_u32 v6, s17, v0
	v_mad_u64_u32 v[3:4], null, s16, v0, 0
	v_mul_lo_u32 v7, s16, v5
	s_delay_alu instid0(VALU_DEP_2) | instskip(NEXT) | instid1(VALU_DEP_2)
	v_sub_co_u32 v3, vcc_lo, v1, v3
	v_add3_u32 v4, v4, v7, v6
	s_delay_alu instid0(VALU_DEP_1) | instskip(NEXT) | instid1(VALU_DEP_1)
	v_sub_nc_u32_e32 v6, v2, v4
	v_subrev_co_ci_u32_e64 v6, s2, s17, v6, vcc_lo
	v_add_co_u32 v7, s2, v0, 2
	s_delay_alu instid0(VALU_DEP_1) | instskip(SKIP_3) | instid1(VALU_DEP_3)
	v_add_co_ci_u32_e64 v8, s2, 0, v5, s2
	v_sub_co_u32 v9, s2, v3, s16
	v_sub_co_ci_u32_e32 v2, vcc_lo, v2, v4, vcc_lo
	v_subrev_co_ci_u32_e64 v6, s2, 0, v6, s2
	v_cmp_le_u32_e32 vcc_lo, s16, v9
	s_delay_alu instid0(VALU_DEP_3) | instskip(SKIP_1) | instid1(VALU_DEP_4)
	v_cmp_eq_u32_e64 s2, s17, v2
	v_cndmask_b32_e64 v4, 0, -1, vcc_lo
	v_cmp_le_u32_e32 vcc_lo, s17, v6
	v_cndmask_b32_e64 v9, 0, -1, vcc_lo
	v_cmp_le_u32_e32 vcc_lo, s16, v3
	;; [unrolled: 2-line block ×3, first 2 shown]
	v_cndmask_b32_e64 v10, 0, -1, vcc_lo
	v_cmp_eq_u32_e32 vcc_lo, s17, v6
	s_delay_alu instid0(VALU_DEP_2) | instskip(SKIP_3) | instid1(VALU_DEP_3)
	v_cndmask_b32_e64 v2, v10, v3, s2
	v_cndmask_b32_e32 v4, v9, v4, vcc_lo
	v_add_co_u32 v6, vcc_lo, v0, 1
	v_add_co_ci_u32_e32 v9, vcc_lo, 0, v5, vcc_lo
	v_cmp_ne_u32_e32 vcc_lo, 0, v4
	s_delay_alu instid0(VALU_DEP_2) | instskip(SKIP_1) | instid1(VALU_DEP_2)
	v_dual_cndmask_b32 v3, v9, v8 :: v_dual_cndmask_b32 v6, v6, v7
	v_cmp_ne_u32_e32 vcc_lo, 0, v2
	v_dual_cndmask_b32 v4, v5, v3 :: v_dual_cndmask_b32 v3, v0, v6
.LBB18_3:
	s_and_not1_saveexec_b32 s2, s3
	s_cbranch_execz .LBB18_5
; %bb.4:
	v_cvt_f32_u32_e32 v0, s16
	s_sub_i32 s3, 0, s16
	s_delay_alu instid0(VALU_DEP_1) | instskip(SKIP_2) | instid1(VALU_DEP_1)
	v_rcp_iflag_f32_e32 v0, v0
	s_waitcnt_depctr 0xfff
	v_mul_f32_e32 v0, 0x4f7ffffe, v0
	v_cvt_u32_f32_e32 v0, v0
	s_delay_alu instid0(VALU_DEP_1) | instskip(NEXT) | instid1(VALU_DEP_1)
	v_mul_lo_u32 v2, s3, v0
	v_mul_hi_u32 v2, v0, v2
	s_delay_alu instid0(VALU_DEP_1) | instskip(NEXT) | instid1(VALU_DEP_1)
	v_add_nc_u32_e32 v0, v0, v2
	v_mul_hi_u32 v0, v1, v0
	s_delay_alu instid0(VALU_DEP_1) | instskip(SKIP_1) | instid1(VALU_DEP_2)
	v_mul_lo_u32 v2, v0, s16
	v_add_nc_u32_e32 v3, 1, v0
	v_sub_nc_u32_e32 v2, v1, v2
	s_delay_alu instid0(VALU_DEP_1) | instskip(SKIP_1) | instid1(VALU_DEP_2)
	v_subrev_nc_u32_e32 v4, s16, v2
	v_cmp_le_u32_e32 vcc_lo, s16, v2
	v_cndmask_b32_e32 v2, v2, v4, vcc_lo
	v_mov_b32_e32 v4, 0
	v_cndmask_b32_e32 v0, v0, v3, vcc_lo
	s_delay_alu instid0(VALU_DEP_3) | instskip(NEXT) | instid1(VALU_DEP_2)
	v_cmp_le_u32_e32 vcc_lo, s16, v2
	v_add_nc_u32_e32 v3, 1, v0
	s_delay_alu instid0(VALU_DEP_1)
	v_cndmask_b32_e32 v3, v0, v3, vcc_lo
.LBB18_5:
	s_or_b32 exec_lo, exec_lo, s2
	s_delay_alu instid0(VALU_DEP_1) | instskip(SKIP_1) | instid1(VALU_DEP_1)
	v_or_b32_e32 v6, s9, v4
	v_mov_b32_e32 v5, 0
	v_cmp_ne_u64_e32 vcc_lo, 0, v[5:6]
                                        ; implicit-def: $vgpr5_vgpr6
	s_and_saveexec_b32 s2, vcc_lo
	s_delay_alu instid0(SALU_CYCLE_1)
	s_xor_b32 s3, exec_lo, s2
	s_cbranch_execnz .LBB18_8
; %bb.6:
	s_and_not1_saveexec_b32 s2, s3
	s_cbranch_execnz .LBB18_9
.LBB18_7:
	s_or_b32 exec_lo, exec_lo, s2
	s_cmp_eq_u64 s[6:7], 0
	s_mov_b64 s[2:3], 0
	s_cbranch_scc0 .LBB18_10
	s_branch .LBB18_16
.LBB18_8:
	v_cvt_f32_u32_e32 v0, s8
	v_cvt_f32_u32_e32 v2, s9
	s_sub_u32 s2, 0, s8
	s_subb_u32 s11, 0, s9
	s_delay_alu instid0(VALU_DEP_1) | instskip(NEXT) | instid1(VALU_DEP_1)
	v_fmamk_f32 v0, v2, 0x4f800000, v0
	v_rcp_f32_e32 v0, v0
	s_waitcnt_depctr 0xfff
	v_mul_f32_e32 v0, 0x5f7ffffc, v0
	s_delay_alu instid0(VALU_DEP_1) | instskip(NEXT) | instid1(VALU_DEP_1)
	v_mul_f32_e32 v2, 0x2f800000, v0
	v_trunc_f32_e32 v2, v2
	s_delay_alu instid0(VALU_DEP_1) | instskip(SKIP_1) | instid1(VALU_DEP_2)
	v_fmamk_f32 v0, v2, 0xcf800000, v0
	v_cvt_u32_f32_e32 v2, v2
	v_cvt_u32_f32_e32 v0, v0
	s_delay_alu instid0(VALU_DEP_2) | instskip(NEXT) | instid1(VALU_DEP_2)
	v_mul_lo_u32 v5, s2, v2
	v_mul_hi_u32 v6, s2, v0
	v_mul_lo_u32 v7, s11, v0
	s_delay_alu instid0(VALU_DEP_2) | instskip(SKIP_1) | instid1(VALU_DEP_2)
	v_add_nc_u32_e32 v5, v6, v5
	v_mul_lo_u32 v6, s2, v0
	v_add_nc_u32_e32 v5, v5, v7
	s_delay_alu instid0(VALU_DEP_2) | instskip(NEXT) | instid1(VALU_DEP_2)
	v_mul_hi_u32 v7, v0, v6
	v_mul_lo_u32 v8, v0, v5
	v_mul_hi_u32 v9, v0, v5
	v_mul_hi_u32 v10, v2, v6
	v_mul_lo_u32 v6, v2, v6
	v_mul_hi_u32 v11, v2, v5
	v_mul_lo_u32 v5, v2, v5
	v_add_co_u32 v7, vcc_lo, v7, v8
	v_add_co_ci_u32_e32 v8, vcc_lo, 0, v9, vcc_lo
	s_delay_alu instid0(VALU_DEP_2) | instskip(NEXT) | instid1(VALU_DEP_2)
	v_add_co_u32 v6, vcc_lo, v7, v6
	v_add_co_ci_u32_e32 v6, vcc_lo, v8, v10, vcc_lo
	v_add_co_ci_u32_e32 v7, vcc_lo, 0, v11, vcc_lo
	s_delay_alu instid0(VALU_DEP_2) | instskip(NEXT) | instid1(VALU_DEP_2)
	v_add_co_u32 v5, vcc_lo, v6, v5
	v_add_co_ci_u32_e32 v6, vcc_lo, 0, v7, vcc_lo
	s_delay_alu instid0(VALU_DEP_2) | instskip(NEXT) | instid1(VALU_DEP_2)
	v_add_co_u32 v0, vcc_lo, v0, v5
	v_add_co_ci_u32_e32 v2, vcc_lo, v2, v6, vcc_lo
	s_delay_alu instid0(VALU_DEP_2) | instskip(SKIP_1) | instid1(VALU_DEP_3)
	v_mul_hi_u32 v5, s2, v0
	v_mul_lo_u32 v7, s11, v0
	v_mul_lo_u32 v6, s2, v2
	s_delay_alu instid0(VALU_DEP_1) | instskip(SKIP_1) | instid1(VALU_DEP_2)
	v_add_nc_u32_e32 v5, v5, v6
	v_mul_lo_u32 v6, s2, v0
	v_add_nc_u32_e32 v5, v5, v7
	s_delay_alu instid0(VALU_DEP_2) | instskip(NEXT) | instid1(VALU_DEP_2)
	v_mul_hi_u32 v7, v0, v6
	v_mul_lo_u32 v8, v0, v5
	v_mul_hi_u32 v9, v0, v5
	v_mul_hi_u32 v10, v2, v6
	v_mul_lo_u32 v6, v2, v6
	v_mul_hi_u32 v11, v2, v5
	v_mul_lo_u32 v5, v2, v5
	v_add_co_u32 v7, vcc_lo, v7, v8
	v_add_co_ci_u32_e32 v8, vcc_lo, 0, v9, vcc_lo
	s_delay_alu instid0(VALU_DEP_2) | instskip(NEXT) | instid1(VALU_DEP_2)
	v_add_co_u32 v6, vcc_lo, v7, v6
	v_add_co_ci_u32_e32 v6, vcc_lo, v8, v10, vcc_lo
	v_add_co_ci_u32_e32 v7, vcc_lo, 0, v11, vcc_lo
	s_delay_alu instid0(VALU_DEP_2) | instskip(NEXT) | instid1(VALU_DEP_2)
	v_add_co_u32 v5, vcc_lo, v6, v5
	v_add_co_ci_u32_e32 v6, vcc_lo, 0, v7, vcc_lo
	s_delay_alu instid0(VALU_DEP_2) | instskip(NEXT) | instid1(VALU_DEP_2)
	v_add_co_u32 v0, vcc_lo, v0, v5
	v_add_co_ci_u32_e32 v2, vcc_lo, v2, v6, vcc_lo
	s_delay_alu instid0(VALU_DEP_2) | instskip(SKIP_1) | instid1(VALU_DEP_3)
	v_mul_hi_u32 v11, v3, v0
	v_mad_u64_u32 v[7:8], null, v4, v0, 0
	v_mad_u64_u32 v[5:6], null, v3, v2, 0
	;; [unrolled: 1-line block ×3, first 2 shown]
	s_delay_alu instid0(VALU_DEP_2) | instskip(NEXT) | instid1(VALU_DEP_3)
	v_add_co_u32 v0, vcc_lo, v11, v5
	v_add_co_ci_u32_e32 v2, vcc_lo, 0, v6, vcc_lo
	s_delay_alu instid0(VALU_DEP_2) | instskip(NEXT) | instid1(VALU_DEP_2)
	v_add_co_u32 v0, vcc_lo, v0, v7
	v_add_co_ci_u32_e32 v0, vcc_lo, v2, v8, vcc_lo
	v_add_co_ci_u32_e32 v2, vcc_lo, 0, v10, vcc_lo
	s_delay_alu instid0(VALU_DEP_2) | instskip(NEXT) | instid1(VALU_DEP_2)
	v_add_co_u32 v0, vcc_lo, v0, v9
	v_add_co_ci_u32_e32 v2, vcc_lo, 0, v2, vcc_lo
	s_delay_alu instid0(VALU_DEP_2) | instskip(SKIP_1) | instid1(VALU_DEP_3)
	v_mul_lo_u32 v7, s9, v0
	v_mad_u64_u32 v[5:6], null, s8, v0, 0
	v_mul_lo_u32 v0, s8, v2
	s_delay_alu instid0(VALU_DEP_2) | instskip(NEXT) | instid1(VALU_DEP_2)
	v_sub_co_u32 v5, vcc_lo, v3, v5
	v_add3_u32 v0, v6, v0, v7
	s_delay_alu instid0(VALU_DEP_1) | instskip(NEXT) | instid1(VALU_DEP_1)
	v_sub_nc_u32_e32 v2, v4, v0
	v_subrev_co_ci_u32_e64 v2, s2, s9, v2, vcc_lo
	s_delay_alu instid0(VALU_DEP_4) | instskip(SKIP_1) | instid1(VALU_DEP_3)
	v_sub_co_u32 v6, s2, v5, s8
	v_sub_co_ci_u32_e32 v0, vcc_lo, v4, v0, vcc_lo
	v_subrev_co_ci_u32_e64 v2, s2, 0, v2, s2
	s_delay_alu instid0(VALU_DEP_3) | instskip(SKIP_1) | instid1(VALU_DEP_3)
	v_cmp_le_u32_e32 vcc_lo, s8, v6
	v_cndmask_b32_e64 v4, 0, -1, vcc_lo
	v_cmp_le_u32_e32 vcc_lo, s9, v2
	v_cndmask_b32_e64 v7, 0, -1, vcc_lo
	;; [unrolled: 2-line block ×4, first 2 shown]
	v_cmp_eq_u32_e32 vcc_lo, s9, v2
	v_cndmask_b32_e32 v2, v7, v4, vcc_lo
	v_sub_co_u32 v4, vcc_lo, v6, s8
	v_cmp_eq_u32_e32 vcc_lo, s9, v0
	v_cndmask_b32_e32 v0, v9, v8, vcc_lo
	s_delay_alu instid0(VALU_DEP_4) | instskip(NEXT) | instid1(VALU_DEP_4)
	v_cmp_ne_u32_e32 vcc_lo, 0, v2
	v_cndmask_b32_e32 v2, v6, v4, vcc_lo
	s_delay_alu instid0(VALU_DEP_3) | instskip(NEXT) | instid1(VALU_DEP_2)
	v_cmp_ne_u32_e32 vcc_lo, 0, v0
	v_cndmask_b32_e32 v5, v5, v2, vcc_lo
	s_and_not1_saveexec_b32 s2, s3
	s_cbranch_execz .LBB18_7
.LBB18_9:
	v_cvt_f32_u32_e32 v0, s8
	s_sub_i32 s3, 0, s8
	s_delay_alu instid0(VALU_DEP_1) | instskip(SKIP_2) | instid1(VALU_DEP_1)
	v_rcp_iflag_f32_e32 v0, v0
	s_waitcnt_depctr 0xfff
	v_mul_f32_e32 v0, 0x4f7ffffe, v0
	v_cvt_u32_f32_e32 v0, v0
	s_delay_alu instid0(VALU_DEP_1) | instskip(NEXT) | instid1(VALU_DEP_1)
	v_mul_lo_u32 v2, s3, v0
	v_mul_hi_u32 v2, v0, v2
	s_delay_alu instid0(VALU_DEP_1) | instskip(NEXT) | instid1(VALU_DEP_1)
	v_add_nc_u32_e32 v0, v0, v2
	v_mul_hi_u32 v0, v3, v0
	s_delay_alu instid0(VALU_DEP_1) | instskip(NEXT) | instid1(VALU_DEP_1)
	v_mul_lo_u32 v0, v0, s8
	v_sub_nc_u32_e32 v0, v3, v0
	s_delay_alu instid0(VALU_DEP_1) | instskip(SKIP_1) | instid1(VALU_DEP_2)
	v_subrev_nc_u32_e32 v2, s8, v0
	v_cmp_le_u32_e32 vcc_lo, s8, v0
	v_cndmask_b32_e32 v0, v0, v2, vcc_lo
	s_delay_alu instid0(VALU_DEP_1) | instskip(SKIP_1) | instid1(VALU_DEP_2)
	v_subrev_nc_u32_e32 v2, s8, v0
	v_cmp_le_u32_e32 vcc_lo, s8, v0
	v_cndmask_b32_e32 v5, v0, v2, vcc_lo
	s_or_b32 exec_lo, exec_lo, s2
	s_cmp_eq_u64 s[6:7], 0
	s_mov_b64 s[2:3], 0
	s_cbranch_scc1 .LBB18_16
.LBB18_10:
	v_mul_lo_u32 v0, v3, s16
	s_load_b32 s0, s[0:1], 0x30
	s_delay_alu instid0(VALU_DEP_1) | instskip(NEXT) | instid1(VALU_DEP_1)
	v_sub_nc_u32_e32 v0, v1, v0
	v_add_nc_u32_e32 v2, 1, v0
	v_cvt_f32_i32_e32 v0, v0
	s_delay_alu instid0(VALU_DEP_2) | instskip(SKIP_1) | instid1(VALU_DEP_2)
	v_cvt_f32_i32_e32 v2, v2
	s_waitcnt lgkmcnt(0)
	v_fma_f32 v0, v0, s0, -0.5
	s_delay_alu instid0(VALU_DEP_2) | instskip(NEXT) | instid1(VALU_DEP_2)
	v_fma_f32 v2, v2, s0, -0.5
	v_ceil_f32_e32 v0, v0
	s_delay_alu instid0(VALU_DEP_2) | instskip(NEXT) | instid1(VALU_DEP_2)
	v_ceil_f32_e32 v2, v2
	v_cvt_i32_f32_e32 v3, v0
	s_delay_alu instid0(VALU_DEP_2) | instskip(NEXT) | instid1(VALU_DEP_2)
	v_cvt_i32_f32_e32 v2, v2
	v_min_i32_e32 v0, s10, v3
	s_delay_alu instid0(VALU_DEP_2) | instskip(NEXT) | instid1(VALU_DEP_1)
	v_min_i32_e32 v4, s10, v2
	v_cmp_gt_i32_e64 s0, v4, v3
	s_branch .LBB18_12
.LBB18_11:                              ;   in Loop: Header=BB18_12 Depth=1
	s_or_b32 exec_lo, exec_lo, s1
	s_delay_alu instid0(VALU_DEP_1) | instskip(SKIP_3) | instid1(SALU_CYCLE_1)
	v_bfe_u32 v3, v6, 16, 1
	v_ashrrev_i32_e32 v2, 31, v1
	s_add_u32 s2, s2, 1
	s_addc_u32 s3, s3, 0
	v_cmp_ge_u64_e64 s1, s[2:3], s[6:7]
	v_add3_u32 v7, v6, v3, 0x7fff
	v_lshlrev_b64 v[2:3], 1, v[1:2]
	v_add_nc_u32_e32 v1, s12, v1
	s_delay_alu instid0(VALU_DEP_3) | instskip(NEXT) | instid1(VALU_DEP_3)
	v_lshrrev_b32_e32 v7, 16, v7
	v_add_co_u32 v2, vcc_lo, s18, v2
	s_delay_alu instid0(VALU_DEP_4) | instskip(SKIP_1) | instid1(VALU_DEP_4)
	v_add_co_ci_u32_e32 v3, vcc_lo, s19, v3, vcc_lo
	v_cmp_o_f32_e32 vcc_lo, v6, v6
	v_cndmask_b32_e32 v6, 0x7fc0, v7, vcc_lo
	s_and_b32 vcc_lo, exec_lo, s1
	global_store_b16 v[2:3], v6, off
	s_cbranch_vccnz .LBB18_16
.LBB18_12:                              ; =>This Loop Header: Depth=1
                                        ;     Child Loop BB18_14 Depth 2
	v_mov_b32_e32 v6, 0
	s_delay_alu instid0(VALU_DEP_2)
	s_and_saveexec_b32 s1, s0
	s_cbranch_execz .LBB18_11
; %bb.13:                               ;   in Loop: Header=BB18_12 Depth=1
	s_delay_alu instid0(VALU_DEP_1) | instskip(SKIP_2) | instid1(VALU_DEP_2)
	v_mad_u64_u32 v[6:7], null, s2, s8, v[5:6]
	s_mov_b32 s9, 0
	v_mov_b32_e32 v7, v0
	v_mad_u64_u32 v[2:3], null, v6, s10, v[0:1]
	v_mov_b32_e32 v6, 0
.LBB18_14:                              ;   Parent Loop BB18_12 Depth=1
                                        ; =>  This Inner Loop Header: Depth=2
	s_delay_alu instid0(VALU_DEP_2) | instskip(NEXT) | instid1(VALU_DEP_4)
	v_ashrrev_i32_e32 v3, 31, v2
	v_add_nc_u32_e32 v7, 1, v7
	s_delay_alu instid0(VALU_DEP_2) | instskip(SKIP_1) | instid1(VALU_DEP_2)
	v_lshlrev_b64 v[8:9], 1, v[2:3]
	v_add_nc_u32_e32 v2, 1, v2
	v_add_co_u32 v8, vcc_lo, s4, v8
	s_delay_alu instid0(VALU_DEP_3)
	v_add_co_ci_u32_e32 v9, vcc_lo, s5, v9, vcc_lo
	v_cmp_ge_i32_e32 vcc_lo, v7, v4
	global_load_u16 v3, v[8:9], off
	s_or_b32 s9, vcc_lo, s9
	s_waitcnt vmcnt(0)
	v_lshlrev_b32_e32 v3, 16, v3
	s_delay_alu instid0(VALU_DEP_1)
	v_add_f32_e32 v6, v6, v3
	s_and_not1_b32 exec_lo, exec_lo, s9
	s_cbranch_execnz .LBB18_14
; %bb.15:                               ;   in Loop: Header=BB18_12 Depth=1
	s_or_b32 exec_lo, exec_lo, s9
	s_branch .LBB18_11
.LBB18_16:
	s_nop 0
	s_sendmsg sendmsg(MSG_DEALLOC_VGPRS)
	s_endpgm
	.section	.rodata,"a",@progbits
	.p2align	6, 0x0
	.amdhsa_kernel _ZN2at6native12_GLOBAL__N_137upsample_nearest1d_backward_out_frameIN3c108BFloat16EfXadL_ZNS0_46nearest_neighbor_exact_bw_compute_source_indexEfiiEEEEvPKT_mmmmPS5_f
		.amdhsa_group_segment_fixed_size 0
		.amdhsa_private_segment_fixed_size 0
		.amdhsa_kernarg_size 312
		.amdhsa_user_sgpr_count 15
		.amdhsa_user_sgpr_dispatch_ptr 0
		.amdhsa_user_sgpr_queue_ptr 0
		.amdhsa_user_sgpr_kernarg_segment_ptr 1
		.amdhsa_user_sgpr_dispatch_id 0
		.amdhsa_user_sgpr_private_segment_size 0
		.amdhsa_wavefront_size32 1
		.amdhsa_uses_dynamic_stack 0
		.amdhsa_enable_private_segment 0
		.amdhsa_system_sgpr_workgroup_id_x 1
		.amdhsa_system_sgpr_workgroup_id_y 0
		.amdhsa_system_sgpr_workgroup_id_z 0
		.amdhsa_system_sgpr_workgroup_info 0
		.amdhsa_system_vgpr_workitem_id 0
		.amdhsa_next_free_vgpr 12
		.amdhsa_next_free_sgpr 20
		.amdhsa_reserve_vcc 1
		.amdhsa_float_round_mode_32 0
		.amdhsa_float_round_mode_16_64 0
		.amdhsa_float_denorm_mode_32 3
		.amdhsa_float_denorm_mode_16_64 3
		.amdhsa_dx10_clamp 1
		.amdhsa_ieee_mode 1
		.amdhsa_fp16_overflow 0
		.amdhsa_workgroup_processor_mode 1
		.amdhsa_memory_ordered 1
		.amdhsa_forward_progress 0
		.amdhsa_shared_vgpr_count 0
		.amdhsa_exception_fp_ieee_invalid_op 0
		.amdhsa_exception_fp_denorm_src 0
		.amdhsa_exception_fp_ieee_div_zero 0
		.amdhsa_exception_fp_ieee_overflow 0
		.amdhsa_exception_fp_ieee_underflow 0
		.amdhsa_exception_fp_ieee_inexact 0
		.amdhsa_exception_int_div_zero 0
	.end_amdhsa_kernel
	.section	.text._ZN2at6native12_GLOBAL__N_137upsample_nearest1d_backward_out_frameIN3c108BFloat16EfXadL_ZNS0_46nearest_neighbor_exact_bw_compute_source_indexEfiiEEEEvPKT_mmmmPS5_f,"axG",@progbits,_ZN2at6native12_GLOBAL__N_137upsample_nearest1d_backward_out_frameIN3c108BFloat16EfXadL_ZNS0_46nearest_neighbor_exact_bw_compute_source_indexEfiiEEEEvPKT_mmmmPS5_f,comdat
.Lfunc_end18:
	.size	_ZN2at6native12_GLOBAL__N_137upsample_nearest1d_backward_out_frameIN3c108BFloat16EfXadL_ZNS0_46nearest_neighbor_exact_bw_compute_source_indexEfiiEEEEvPKT_mmmmPS5_f, .Lfunc_end18-_ZN2at6native12_GLOBAL__N_137upsample_nearest1d_backward_out_frameIN3c108BFloat16EfXadL_ZNS0_46nearest_neighbor_exact_bw_compute_source_indexEfiiEEEEvPKT_mmmmPS5_f
                                        ; -- End function
	.section	.AMDGPU.csdata,"",@progbits
; Kernel info:
; codeLenInByte = 2288
; NumSgprs: 22
; NumVgprs: 12
; ScratchSize: 0
; MemoryBound: 0
; FloatMode: 240
; IeeeMode: 1
; LDSByteSize: 0 bytes/workgroup (compile time only)
; SGPRBlocks: 2
; VGPRBlocks: 1
; NumSGPRsForWavesPerEU: 22
; NumVGPRsForWavesPerEU: 12
; Occupancy: 16
; WaveLimiterHint : 0
; COMPUTE_PGM_RSRC2:SCRATCH_EN: 0
; COMPUTE_PGM_RSRC2:USER_SGPR: 15
; COMPUTE_PGM_RSRC2:TRAP_HANDLER: 0
; COMPUTE_PGM_RSRC2:TGID_X_EN: 1
; COMPUTE_PGM_RSRC2:TGID_Y_EN: 0
; COMPUTE_PGM_RSRC2:TGID_Z_EN: 0
; COMPUTE_PGM_RSRC2:TIDIG_COMP_CNT: 0
	.section	.text._ZN2at6native12_GLOBAL__N_137upsample_nearest1d_backward_out_frameIhlXadL_ZNS0_46nearest_neighbor_exact_bw_compute_source_indexEfiiEEEEvPKT_mmmmPS3_f,"axG",@progbits,_ZN2at6native12_GLOBAL__N_137upsample_nearest1d_backward_out_frameIhlXadL_ZNS0_46nearest_neighbor_exact_bw_compute_source_indexEfiiEEEEvPKT_mmmmPS3_f,comdat
	.globl	_ZN2at6native12_GLOBAL__N_137upsample_nearest1d_backward_out_frameIhlXadL_ZNS0_46nearest_neighbor_exact_bw_compute_source_indexEfiiEEEEvPKT_mmmmPS3_f ; -- Begin function _ZN2at6native12_GLOBAL__N_137upsample_nearest1d_backward_out_frameIhlXadL_ZNS0_46nearest_neighbor_exact_bw_compute_source_indexEfiiEEEEvPKT_mmmmPS3_f
	.p2align	8
	.type	_ZN2at6native12_GLOBAL__N_137upsample_nearest1d_backward_out_frameIhlXadL_ZNS0_46nearest_neighbor_exact_bw_compute_source_indexEfiiEEEEvPKT_mmmmPS3_f,@function
_ZN2at6native12_GLOBAL__N_137upsample_nearest1d_backward_out_frameIhlXadL_ZNS0_46nearest_neighbor_exact_bw_compute_source_indexEfiiEEEEvPKT_mmmmPS3_f: ; @_ZN2at6native12_GLOBAL__N_137upsample_nearest1d_backward_out_frameIhlXadL_ZNS0_46nearest_neighbor_exact_bw_compute_source_indexEfiiEEEEvPKT_mmmmPS3_f
; %bb.0:
	s_clause 0x2
	s_load_b32 s2, s[0:1], 0x44
	s_load_b128 s[16:19], s[0:1], 0x20
	s_load_b256 s[4:11], s[0:1], 0x0
	s_waitcnt lgkmcnt(0)
	s_and_b32 s2, s2, 0xffff
	s_delay_alu instid0(SALU_CYCLE_1)
	v_mad_u64_u32 v[1:2], null, s15, s2, v[0:1]
	s_mul_i32 s2, s16, s9
	s_mul_hi_u32 s3, s16, s8
	s_mul_i32 s12, s16, s8
	s_add_i32 s2, s3, s2
	s_mul_i32 s3, s17, s8
	s_delay_alu instid0(SALU_CYCLE_1) | instskip(NEXT) | instid1(VALU_DEP_1)
	s_add_i32 s13, s2, s3
	v_ashrrev_i32_e32 v2, 31, v1
	s_mov_b32 s2, exec_lo
	s_delay_alu instid0(VALU_DEP_1)
	v_cmpx_gt_u64_e64 s[12:13], v[1:2]
	s_cbranch_execz .LBB19_16
; %bb.1:
	v_or_b32_e32 v4, s17, v2
	v_mov_b32_e32 v3, 0
	s_delay_alu instid0(VALU_DEP_1) | instskip(SKIP_1) | instid1(SALU_CYCLE_1)
	v_cmp_ne_u64_e32 vcc_lo, 0, v[3:4]
                                        ; implicit-def: $vgpr3_vgpr4
	s_and_saveexec_b32 s2, vcc_lo
	s_xor_b32 s3, exec_lo, s2
	s_cbranch_execz .LBB19_3
; %bb.2:
	v_cvt_f32_u32_e32 v0, s16
	v_cvt_f32_u32_e32 v3, s17
	s_sub_u32 s2, 0, s16
	s_subb_u32 s11, 0, s17
	s_delay_alu instid0(VALU_DEP_1) | instskip(NEXT) | instid1(VALU_DEP_1)
	v_fmamk_f32 v0, v3, 0x4f800000, v0
	v_rcp_f32_e32 v0, v0
	s_waitcnt_depctr 0xfff
	v_mul_f32_e32 v0, 0x5f7ffffc, v0
	s_delay_alu instid0(VALU_DEP_1) | instskip(NEXT) | instid1(VALU_DEP_1)
	v_mul_f32_e32 v3, 0x2f800000, v0
	v_trunc_f32_e32 v3, v3
	s_delay_alu instid0(VALU_DEP_1) | instskip(SKIP_1) | instid1(VALU_DEP_2)
	v_fmamk_f32 v0, v3, 0xcf800000, v0
	v_cvt_u32_f32_e32 v3, v3
	v_cvt_u32_f32_e32 v0, v0
	s_delay_alu instid0(VALU_DEP_2) | instskip(NEXT) | instid1(VALU_DEP_2)
	v_mul_lo_u32 v4, s2, v3
	v_mul_hi_u32 v5, s2, v0
	v_mul_lo_u32 v6, s11, v0
	s_delay_alu instid0(VALU_DEP_2) | instskip(SKIP_1) | instid1(VALU_DEP_2)
	v_add_nc_u32_e32 v4, v5, v4
	v_mul_lo_u32 v5, s2, v0
	v_add_nc_u32_e32 v4, v4, v6
	s_delay_alu instid0(VALU_DEP_2) | instskip(NEXT) | instid1(VALU_DEP_2)
	v_mul_hi_u32 v6, v0, v5
	v_mul_lo_u32 v7, v0, v4
	v_mul_hi_u32 v8, v0, v4
	v_mul_hi_u32 v9, v3, v5
	v_mul_lo_u32 v5, v3, v5
	v_mul_hi_u32 v10, v3, v4
	v_mul_lo_u32 v4, v3, v4
	v_add_co_u32 v6, vcc_lo, v6, v7
	v_add_co_ci_u32_e32 v7, vcc_lo, 0, v8, vcc_lo
	s_delay_alu instid0(VALU_DEP_2) | instskip(NEXT) | instid1(VALU_DEP_2)
	v_add_co_u32 v5, vcc_lo, v6, v5
	v_add_co_ci_u32_e32 v5, vcc_lo, v7, v9, vcc_lo
	v_add_co_ci_u32_e32 v6, vcc_lo, 0, v10, vcc_lo
	s_delay_alu instid0(VALU_DEP_2) | instskip(NEXT) | instid1(VALU_DEP_2)
	v_add_co_u32 v4, vcc_lo, v5, v4
	v_add_co_ci_u32_e32 v5, vcc_lo, 0, v6, vcc_lo
	s_delay_alu instid0(VALU_DEP_2) | instskip(NEXT) | instid1(VALU_DEP_2)
	v_add_co_u32 v0, vcc_lo, v0, v4
	v_add_co_ci_u32_e32 v3, vcc_lo, v3, v5, vcc_lo
	s_delay_alu instid0(VALU_DEP_2) | instskip(SKIP_1) | instid1(VALU_DEP_3)
	v_mul_hi_u32 v4, s2, v0
	v_mul_lo_u32 v6, s11, v0
	v_mul_lo_u32 v5, s2, v3
	s_delay_alu instid0(VALU_DEP_1) | instskip(SKIP_1) | instid1(VALU_DEP_2)
	v_add_nc_u32_e32 v4, v4, v5
	v_mul_lo_u32 v5, s2, v0
	v_add_nc_u32_e32 v4, v4, v6
	s_delay_alu instid0(VALU_DEP_2) | instskip(NEXT) | instid1(VALU_DEP_2)
	v_mul_hi_u32 v6, v0, v5
	v_mul_lo_u32 v7, v0, v4
	v_mul_hi_u32 v8, v0, v4
	v_mul_hi_u32 v9, v3, v5
	v_mul_lo_u32 v5, v3, v5
	v_mul_hi_u32 v10, v3, v4
	v_mul_lo_u32 v4, v3, v4
	v_add_co_u32 v6, vcc_lo, v6, v7
	v_add_co_ci_u32_e32 v7, vcc_lo, 0, v8, vcc_lo
	s_delay_alu instid0(VALU_DEP_2) | instskip(NEXT) | instid1(VALU_DEP_2)
	v_add_co_u32 v5, vcc_lo, v6, v5
	v_add_co_ci_u32_e32 v5, vcc_lo, v7, v9, vcc_lo
	v_add_co_ci_u32_e32 v6, vcc_lo, 0, v10, vcc_lo
	s_delay_alu instid0(VALU_DEP_2) | instskip(NEXT) | instid1(VALU_DEP_2)
	v_add_co_u32 v4, vcc_lo, v5, v4
	v_add_co_ci_u32_e32 v5, vcc_lo, 0, v6, vcc_lo
	s_delay_alu instid0(VALU_DEP_2) | instskip(NEXT) | instid1(VALU_DEP_2)
	v_add_co_u32 v0, vcc_lo, v0, v4
	v_add_co_ci_u32_e32 v9, vcc_lo, v3, v5, vcc_lo
	s_delay_alu instid0(VALU_DEP_2) | instskip(SKIP_1) | instid1(VALU_DEP_3)
	v_mul_hi_u32 v10, v1, v0
	v_mad_u64_u32 v[5:6], null, v2, v0, 0
	v_mad_u64_u32 v[3:4], null, v1, v9, 0
	;; [unrolled: 1-line block ×3, first 2 shown]
	s_delay_alu instid0(VALU_DEP_2) | instskip(NEXT) | instid1(VALU_DEP_3)
	v_add_co_u32 v0, vcc_lo, v10, v3
	v_add_co_ci_u32_e32 v3, vcc_lo, 0, v4, vcc_lo
	s_delay_alu instid0(VALU_DEP_2) | instskip(NEXT) | instid1(VALU_DEP_2)
	v_add_co_u32 v0, vcc_lo, v0, v5
	v_add_co_ci_u32_e32 v0, vcc_lo, v3, v6, vcc_lo
	v_add_co_ci_u32_e32 v3, vcc_lo, 0, v8, vcc_lo
	s_delay_alu instid0(VALU_DEP_2) | instskip(NEXT) | instid1(VALU_DEP_2)
	v_add_co_u32 v0, vcc_lo, v0, v7
	v_add_co_ci_u32_e32 v5, vcc_lo, 0, v3, vcc_lo
	s_delay_alu instid0(VALU_DEP_2) | instskip(SKIP_1) | instid1(VALU_DEP_3)
	v_mul_lo_u32 v6, s17, v0
	v_mad_u64_u32 v[3:4], null, s16, v0, 0
	v_mul_lo_u32 v7, s16, v5
	s_delay_alu instid0(VALU_DEP_2) | instskip(NEXT) | instid1(VALU_DEP_2)
	v_sub_co_u32 v3, vcc_lo, v1, v3
	v_add3_u32 v4, v4, v7, v6
	s_delay_alu instid0(VALU_DEP_1) | instskip(NEXT) | instid1(VALU_DEP_1)
	v_sub_nc_u32_e32 v6, v2, v4
	v_subrev_co_ci_u32_e64 v6, s2, s17, v6, vcc_lo
	v_add_co_u32 v7, s2, v0, 2
	s_delay_alu instid0(VALU_DEP_1) | instskip(SKIP_3) | instid1(VALU_DEP_3)
	v_add_co_ci_u32_e64 v8, s2, 0, v5, s2
	v_sub_co_u32 v9, s2, v3, s16
	v_sub_co_ci_u32_e32 v2, vcc_lo, v2, v4, vcc_lo
	v_subrev_co_ci_u32_e64 v6, s2, 0, v6, s2
	v_cmp_le_u32_e32 vcc_lo, s16, v9
	s_delay_alu instid0(VALU_DEP_3) | instskip(SKIP_1) | instid1(VALU_DEP_4)
	v_cmp_eq_u32_e64 s2, s17, v2
	v_cndmask_b32_e64 v4, 0, -1, vcc_lo
	v_cmp_le_u32_e32 vcc_lo, s17, v6
	v_cndmask_b32_e64 v9, 0, -1, vcc_lo
	v_cmp_le_u32_e32 vcc_lo, s16, v3
	v_cndmask_b32_e64 v3, 0, -1, vcc_lo
	v_cmp_le_u32_e32 vcc_lo, s17, v2
	v_cndmask_b32_e64 v10, 0, -1, vcc_lo
	v_cmp_eq_u32_e32 vcc_lo, s17, v6
	s_delay_alu instid0(VALU_DEP_2) | instskip(SKIP_3) | instid1(VALU_DEP_3)
	v_cndmask_b32_e64 v2, v10, v3, s2
	v_cndmask_b32_e32 v4, v9, v4, vcc_lo
	v_add_co_u32 v6, vcc_lo, v0, 1
	v_add_co_ci_u32_e32 v9, vcc_lo, 0, v5, vcc_lo
	v_cmp_ne_u32_e32 vcc_lo, 0, v4
	s_delay_alu instid0(VALU_DEP_2) | instskip(SKIP_1) | instid1(VALU_DEP_2)
	v_dual_cndmask_b32 v3, v9, v8 :: v_dual_cndmask_b32 v6, v6, v7
	v_cmp_ne_u32_e32 vcc_lo, 0, v2
	v_dual_cndmask_b32 v4, v5, v3 :: v_dual_cndmask_b32 v3, v0, v6
.LBB19_3:
	s_and_not1_saveexec_b32 s2, s3
	s_cbranch_execz .LBB19_5
; %bb.4:
	v_cvt_f32_u32_e32 v0, s16
	s_sub_i32 s3, 0, s16
	s_delay_alu instid0(VALU_DEP_1) | instskip(SKIP_2) | instid1(VALU_DEP_1)
	v_rcp_iflag_f32_e32 v0, v0
	s_waitcnt_depctr 0xfff
	v_mul_f32_e32 v0, 0x4f7ffffe, v0
	v_cvt_u32_f32_e32 v0, v0
	s_delay_alu instid0(VALU_DEP_1) | instskip(NEXT) | instid1(VALU_DEP_1)
	v_mul_lo_u32 v2, s3, v0
	v_mul_hi_u32 v2, v0, v2
	s_delay_alu instid0(VALU_DEP_1) | instskip(NEXT) | instid1(VALU_DEP_1)
	v_add_nc_u32_e32 v0, v0, v2
	v_mul_hi_u32 v0, v1, v0
	s_delay_alu instid0(VALU_DEP_1) | instskip(SKIP_1) | instid1(VALU_DEP_2)
	v_mul_lo_u32 v2, v0, s16
	v_add_nc_u32_e32 v3, 1, v0
	v_sub_nc_u32_e32 v2, v1, v2
	s_delay_alu instid0(VALU_DEP_1) | instskip(SKIP_1) | instid1(VALU_DEP_2)
	v_subrev_nc_u32_e32 v4, s16, v2
	v_cmp_le_u32_e32 vcc_lo, s16, v2
	v_cndmask_b32_e32 v2, v2, v4, vcc_lo
	v_mov_b32_e32 v4, 0
	v_cndmask_b32_e32 v0, v0, v3, vcc_lo
	s_delay_alu instid0(VALU_DEP_3) | instskip(NEXT) | instid1(VALU_DEP_2)
	v_cmp_le_u32_e32 vcc_lo, s16, v2
	v_add_nc_u32_e32 v3, 1, v0
	s_delay_alu instid0(VALU_DEP_1)
	v_cndmask_b32_e32 v3, v0, v3, vcc_lo
.LBB19_5:
	s_or_b32 exec_lo, exec_lo, s2
	s_delay_alu instid0(VALU_DEP_1) | instskip(SKIP_1) | instid1(VALU_DEP_1)
	v_or_b32_e32 v6, s9, v4
	v_mov_b32_e32 v5, 0
	v_cmp_ne_u64_e32 vcc_lo, 0, v[5:6]
                                        ; implicit-def: $vgpr5_vgpr6
	s_and_saveexec_b32 s2, vcc_lo
	s_delay_alu instid0(SALU_CYCLE_1)
	s_xor_b32 s3, exec_lo, s2
	s_cbranch_execnz .LBB19_8
; %bb.6:
	s_and_not1_saveexec_b32 s2, s3
	s_cbranch_execnz .LBB19_9
.LBB19_7:
	s_or_b32 exec_lo, exec_lo, s2
	s_cmp_eq_u64 s[6:7], 0
	s_mov_b64 s[2:3], 0
	s_cbranch_scc0 .LBB19_10
	s_branch .LBB19_16
.LBB19_8:
	v_cvt_f32_u32_e32 v0, s8
	v_cvt_f32_u32_e32 v2, s9
	s_sub_u32 s2, 0, s8
	s_subb_u32 s11, 0, s9
	s_delay_alu instid0(VALU_DEP_1) | instskip(NEXT) | instid1(VALU_DEP_1)
	v_fmamk_f32 v0, v2, 0x4f800000, v0
	v_rcp_f32_e32 v0, v0
	s_waitcnt_depctr 0xfff
	v_mul_f32_e32 v0, 0x5f7ffffc, v0
	s_delay_alu instid0(VALU_DEP_1) | instskip(NEXT) | instid1(VALU_DEP_1)
	v_mul_f32_e32 v2, 0x2f800000, v0
	v_trunc_f32_e32 v2, v2
	s_delay_alu instid0(VALU_DEP_1) | instskip(SKIP_1) | instid1(VALU_DEP_2)
	v_fmamk_f32 v0, v2, 0xcf800000, v0
	v_cvt_u32_f32_e32 v2, v2
	v_cvt_u32_f32_e32 v0, v0
	s_delay_alu instid0(VALU_DEP_2) | instskip(NEXT) | instid1(VALU_DEP_2)
	v_mul_lo_u32 v5, s2, v2
	v_mul_hi_u32 v6, s2, v0
	v_mul_lo_u32 v7, s11, v0
	s_delay_alu instid0(VALU_DEP_2) | instskip(SKIP_1) | instid1(VALU_DEP_2)
	v_add_nc_u32_e32 v5, v6, v5
	v_mul_lo_u32 v6, s2, v0
	v_add_nc_u32_e32 v5, v5, v7
	s_delay_alu instid0(VALU_DEP_2) | instskip(NEXT) | instid1(VALU_DEP_2)
	v_mul_hi_u32 v7, v0, v6
	v_mul_lo_u32 v8, v0, v5
	v_mul_hi_u32 v9, v0, v5
	v_mul_hi_u32 v10, v2, v6
	v_mul_lo_u32 v6, v2, v6
	v_mul_hi_u32 v11, v2, v5
	v_mul_lo_u32 v5, v2, v5
	v_add_co_u32 v7, vcc_lo, v7, v8
	v_add_co_ci_u32_e32 v8, vcc_lo, 0, v9, vcc_lo
	s_delay_alu instid0(VALU_DEP_2) | instskip(NEXT) | instid1(VALU_DEP_2)
	v_add_co_u32 v6, vcc_lo, v7, v6
	v_add_co_ci_u32_e32 v6, vcc_lo, v8, v10, vcc_lo
	v_add_co_ci_u32_e32 v7, vcc_lo, 0, v11, vcc_lo
	s_delay_alu instid0(VALU_DEP_2) | instskip(NEXT) | instid1(VALU_DEP_2)
	v_add_co_u32 v5, vcc_lo, v6, v5
	v_add_co_ci_u32_e32 v6, vcc_lo, 0, v7, vcc_lo
	s_delay_alu instid0(VALU_DEP_2) | instskip(NEXT) | instid1(VALU_DEP_2)
	v_add_co_u32 v0, vcc_lo, v0, v5
	v_add_co_ci_u32_e32 v2, vcc_lo, v2, v6, vcc_lo
	s_delay_alu instid0(VALU_DEP_2) | instskip(SKIP_1) | instid1(VALU_DEP_3)
	v_mul_hi_u32 v5, s2, v0
	v_mul_lo_u32 v7, s11, v0
	v_mul_lo_u32 v6, s2, v2
	s_delay_alu instid0(VALU_DEP_1) | instskip(SKIP_1) | instid1(VALU_DEP_2)
	v_add_nc_u32_e32 v5, v5, v6
	v_mul_lo_u32 v6, s2, v0
	v_add_nc_u32_e32 v5, v5, v7
	s_delay_alu instid0(VALU_DEP_2) | instskip(NEXT) | instid1(VALU_DEP_2)
	v_mul_hi_u32 v7, v0, v6
	v_mul_lo_u32 v8, v0, v5
	v_mul_hi_u32 v9, v0, v5
	v_mul_hi_u32 v10, v2, v6
	v_mul_lo_u32 v6, v2, v6
	v_mul_hi_u32 v11, v2, v5
	v_mul_lo_u32 v5, v2, v5
	v_add_co_u32 v7, vcc_lo, v7, v8
	v_add_co_ci_u32_e32 v8, vcc_lo, 0, v9, vcc_lo
	s_delay_alu instid0(VALU_DEP_2) | instskip(NEXT) | instid1(VALU_DEP_2)
	v_add_co_u32 v6, vcc_lo, v7, v6
	v_add_co_ci_u32_e32 v6, vcc_lo, v8, v10, vcc_lo
	v_add_co_ci_u32_e32 v7, vcc_lo, 0, v11, vcc_lo
	s_delay_alu instid0(VALU_DEP_2) | instskip(NEXT) | instid1(VALU_DEP_2)
	v_add_co_u32 v5, vcc_lo, v6, v5
	v_add_co_ci_u32_e32 v6, vcc_lo, 0, v7, vcc_lo
	s_delay_alu instid0(VALU_DEP_2) | instskip(NEXT) | instid1(VALU_DEP_2)
	v_add_co_u32 v0, vcc_lo, v0, v5
	v_add_co_ci_u32_e32 v2, vcc_lo, v2, v6, vcc_lo
	s_delay_alu instid0(VALU_DEP_2) | instskip(SKIP_1) | instid1(VALU_DEP_3)
	v_mul_hi_u32 v11, v3, v0
	v_mad_u64_u32 v[7:8], null, v4, v0, 0
	v_mad_u64_u32 v[5:6], null, v3, v2, 0
	;; [unrolled: 1-line block ×3, first 2 shown]
	s_delay_alu instid0(VALU_DEP_2) | instskip(NEXT) | instid1(VALU_DEP_3)
	v_add_co_u32 v0, vcc_lo, v11, v5
	v_add_co_ci_u32_e32 v2, vcc_lo, 0, v6, vcc_lo
	s_delay_alu instid0(VALU_DEP_2) | instskip(NEXT) | instid1(VALU_DEP_2)
	v_add_co_u32 v0, vcc_lo, v0, v7
	v_add_co_ci_u32_e32 v0, vcc_lo, v2, v8, vcc_lo
	v_add_co_ci_u32_e32 v2, vcc_lo, 0, v10, vcc_lo
	s_delay_alu instid0(VALU_DEP_2) | instskip(NEXT) | instid1(VALU_DEP_2)
	v_add_co_u32 v0, vcc_lo, v0, v9
	v_add_co_ci_u32_e32 v2, vcc_lo, 0, v2, vcc_lo
	s_delay_alu instid0(VALU_DEP_2) | instskip(SKIP_1) | instid1(VALU_DEP_3)
	v_mul_lo_u32 v7, s9, v0
	v_mad_u64_u32 v[5:6], null, s8, v0, 0
	v_mul_lo_u32 v0, s8, v2
	s_delay_alu instid0(VALU_DEP_2) | instskip(NEXT) | instid1(VALU_DEP_2)
	v_sub_co_u32 v5, vcc_lo, v3, v5
	v_add3_u32 v0, v6, v0, v7
	s_delay_alu instid0(VALU_DEP_1) | instskip(NEXT) | instid1(VALU_DEP_1)
	v_sub_nc_u32_e32 v2, v4, v0
	v_subrev_co_ci_u32_e64 v2, s2, s9, v2, vcc_lo
	s_delay_alu instid0(VALU_DEP_4) | instskip(SKIP_1) | instid1(VALU_DEP_3)
	v_sub_co_u32 v6, s2, v5, s8
	v_sub_co_ci_u32_e32 v0, vcc_lo, v4, v0, vcc_lo
	v_subrev_co_ci_u32_e64 v2, s2, 0, v2, s2
	s_delay_alu instid0(VALU_DEP_3) | instskip(SKIP_1) | instid1(VALU_DEP_3)
	v_cmp_le_u32_e32 vcc_lo, s8, v6
	v_cndmask_b32_e64 v4, 0, -1, vcc_lo
	v_cmp_le_u32_e32 vcc_lo, s9, v2
	v_cndmask_b32_e64 v7, 0, -1, vcc_lo
	;; [unrolled: 2-line block ×4, first 2 shown]
	v_cmp_eq_u32_e32 vcc_lo, s9, v2
	v_cndmask_b32_e32 v2, v7, v4, vcc_lo
	v_sub_co_u32 v4, vcc_lo, v6, s8
	v_cmp_eq_u32_e32 vcc_lo, s9, v0
	v_cndmask_b32_e32 v0, v9, v8, vcc_lo
	s_delay_alu instid0(VALU_DEP_4) | instskip(NEXT) | instid1(VALU_DEP_4)
	v_cmp_ne_u32_e32 vcc_lo, 0, v2
	v_cndmask_b32_e32 v2, v6, v4, vcc_lo
	s_delay_alu instid0(VALU_DEP_3) | instskip(NEXT) | instid1(VALU_DEP_2)
	v_cmp_ne_u32_e32 vcc_lo, 0, v0
	v_cndmask_b32_e32 v5, v5, v2, vcc_lo
	s_and_not1_saveexec_b32 s2, s3
	s_cbranch_execz .LBB19_7
.LBB19_9:
	v_cvt_f32_u32_e32 v0, s8
	s_sub_i32 s3, 0, s8
	s_delay_alu instid0(VALU_DEP_1) | instskip(SKIP_2) | instid1(VALU_DEP_1)
	v_rcp_iflag_f32_e32 v0, v0
	s_waitcnt_depctr 0xfff
	v_mul_f32_e32 v0, 0x4f7ffffe, v0
	v_cvt_u32_f32_e32 v0, v0
	s_delay_alu instid0(VALU_DEP_1) | instskip(NEXT) | instid1(VALU_DEP_1)
	v_mul_lo_u32 v2, s3, v0
	v_mul_hi_u32 v2, v0, v2
	s_delay_alu instid0(VALU_DEP_1) | instskip(NEXT) | instid1(VALU_DEP_1)
	v_add_nc_u32_e32 v0, v0, v2
	v_mul_hi_u32 v0, v3, v0
	s_delay_alu instid0(VALU_DEP_1) | instskip(NEXT) | instid1(VALU_DEP_1)
	v_mul_lo_u32 v0, v0, s8
	v_sub_nc_u32_e32 v0, v3, v0
	s_delay_alu instid0(VALU_DEP_1) | instskip(SKIP_1) | instid1(VALU_DEP_2)
	v_subrev_nc_u32_e32 v2, s8, v0
	v_cmp_le_u32_e32 vcc_lo, s8, v0
	v_cndmask_b32_e32 v0, v0, v2, vcc_lo
	s_delay_alu instid0(VALU_DEP_1) | instskip(SKIP_1) | instid1(VALU_DEP_2)
	v_subrev_nc_u32_e32 v2, s8, v0
	v_cmp_le_u32_e32 vcc_lo, s8, v0
	v_cndmask_b32_e32 v5, v0, v2, vcc_lo
	s_or_b32 exec_lo, exec_lo, s2
	s_cmp_eq_u64 s[6:7], 0
	s_mov_b64 s[2:3], 0
	s_cbranch_scc1 .LBB19_16
.LBB19_10:
	v_mul_lo_u32 v0, v3, s16
	s_load_b32 s0, s[0:1], 0x30
	s_delay_alu instid0(VALU_DEP_1) | instskip(NEXT) | instid1(VALU_DEP_1)
	v_sub_nc_u32_e32 v0, v1, v0
	v_add_nc_u32_e32 v2, 1, v0
	v_cvt_f32_i32_e32 v0, v0
	s_delay_alu instid0(VALU_DEP_2) | instskip(SKIP_1) | instid1(VALU_DEP_2)
	v_cvt_f32_i32_e32 v2, v2
	s_waitcnt lgkmcnt(0)
	v_fma_f32 v0, v0, s0, -0.5
	s_delay_alu instid0(VALU_DEP_2) | instskip(NEXT) | instid1(VALU_DEP_2)
	v_fma_f32 v2, v2, s0, -0.5
	v_ceil_f32_e32 v0, v0
	s_delay_alu instid0(VALU_DEP_2) | instskip(NEXT) | instid1(VALU_DEP_2)
	v_ceil_f32_e32 v2, v2
	v_cvt_i32_f32_e32 v3, v0
	s_delay_alu instid0(VALU_DEP_2) | instskip(NEXT) | instid1(VALU_DEP_2)
	v_cvt_i32_f32_e32 v2, v2
	v_min_i32_e32 v0, s10, v3
	s_delay_alu instid0(VALU_DEP_2) | instskip(NEXT) | instid1(VALU_DEP_1)
	v_min_i32_e32 v4, s10, v2
	v_cmp_gt_i32_e64 s0, v4, v3
	s_set_inst_prefetch_distance 0x1
	s_branch .LBB19_12
	.p2align	6
.LBB19_11:                              ;   in Loop: Header=BB19_12 Depth=1
	s_or_b32 exec_lo, exec_lo, s9
	s_add_u32 s2, s2, 1
	s_addc_u32 s3, s3, 0
	v_ashrrev_i32_e32 v3, 31, v1
	v_cmp_ge_u64_e64 s1, s[2:3], s[6:7]
	v_add_co_u32 v6, vcc_lo, s18, v1
	v_add_nc_u32_e32 v1, s12, v1
	s_delay_alu instid0(VALU_DEP_4) | instskip(NEXT) | instid1(VALU_DEP_4)
	v_add_co_ci_u32_e32 v7, vcc_lo, s19, v3, vcc_lo
	s_and_b32 vcc_lo, exec_lo, s1
	global_store_b8 v[6:7], v2, off
	s_cbranch_vccnz .LBB19_16
.LBB19_12:                              ; =>This Loop Header: Depth=1
                                        ;     Child Loop BB19_14 Depth 2
	v_mov_b32_e32 v2, 0
	v_mov_b32_e32 v3, 0
	s_and_saveexec_b32 s9, s0
	s_cbranch_execz .LBB19_11
; %bb.13:                               ;   in Loop: Header=BB19_12 Depth=1
	v_mad_u64_u32 v[2:3], null, s2, s8, v[5:6]
	s_mov_b32 s11, 0
	s_delay_alu instid0(VALU_DEP_1)
	v_mad_u64_u32 v[6:7], null, v2, s10, v[0:1]
	v_dual_mov_b32 v2, 0 :: v_dual_mov_b32 v7, v0
	v_mov_b32_e32 v3, 0
	.p2align	6
.LBB19_14:                              ;   Parent Loop BB19_12 Depth=1
                                        ; =>  This Inner Loop Header: Depth=2
	s_delay_alu instid0(VALU_DEP_3) | instskip(SKIP_1) | instid1(VALU_DEP_4)
	v_ashrrev_i32_e32 v9, 31, v6
	v_add_co_u32 v8, vcc_lo, s4, v6
	v_add_nc_u32_e32 v7, 1, v7
	v_add_nc_u32_e32 v6, 1, v6
	s_delay_alu instid0(VALU_DEP_4) | instskip(NEXT) | instid1(VALU_DEP_3)
	v_add_co_ci_u32_e32 v9, vcc_lo, s5, v9, vcc_lo
	v_cmp_ge_i32_e32 vcc_lo, v7, v4
	global_load_u8 v8, v[8:9], off
	s_or_b32 s11, vcc_lo, s11
	s_waitcnt vmcnt(0)
	v_and_b32_e32 v8, 0xffff, v8
	s_delay_alu instid0(VALU_DEP_1) | instskip(NEXT) | instid1(VALU_DEP_1)
	v_add_co_u32 v2, s1, v2, v8
	v_add_co_ci_u32_e64 v3, s1, 0, v3, s1
	s_and_not1_b32 exec_lo, exec_lo, s11
	s_cbranch_execnz .LBB19_14
; %bb.15:                               ;   in Loop: Header=BB19_12 Depth=1
	s_or_b32 exec_lo, exec_lo, s11
	s_branch .LBB19_11
.LBB19_16:
	s_set_inst_prefetch_distance 0x2
	s_nop 0
	s_sendmsg sendmsg(MSG_DEALLOC_VGPRS)
	s_endpgm
	.section	.rodata,"a",@progbits
	.p2align	6, 0x0
	.amdhsa_kernel _ZN2at6native12_GLOBAL__N_137upsample_nearest1d_backward_out_frameIhlXadL_ZNS0_46nearest_neighbor_exact_bw_compute_source_indexEfiiEEEEvPKT_mmmmPS3_f
		.amdhsa_group_segment_fixed_size 0
		.amdhsa_private_segment_fixed_size 0
		.amdhsa_kernarg_size 312
		.amdhsa_user_sgpr_count 15
		.amdhsa_user_sgpr_dispatch_ptr 0
		.amdhsa_user_sgpr_queue_ptr 0
		.amdhsa_user_sgpr_kernarg_segment_ptr 1
		.amdhsa_user_sgpr_dispatch_id 0
		.amdhsa_user_sgpr_private_segment_size 0
		.amdhsa_wavefront_size32 1
		.amdhsa_uses_dynamic_stack 0
		.amdhsa_enable_private_segment 0
		.amdhsa_system_sgpr_workgroup_id_x 1
		.amdhsa_system_sgpr_workgroup_id_y 0
		.amdhsa_system_sgpr_workgroup_id_z 0
		.amdhsa_system_sgpr_workgroup_info 0
		.amdhsa_system_vgpr_workitem_id 0
		.amdhsa_next_free_vgpr 12
		.amdhsa_next_free_sgpr 20
		.amdhsa_reserve_vcc 1
		.amdhsa_float_round_mode_32 0
		.amdhsa_float_round_mode_16_64 0
		.amdhsa_float_denorm_mode_32 3
		.amdhsa_float_denorm_mode_16_64 3
		.amdhsa_dx10_clamp 1
		.amdhsa_ieee_mode 1
		.amdhsa_fp16_overflow 0
		.amdhsa_workgroup_processor_mode 1
		.amdhsa_memory_ordered 1
		.amdhsa_forward_progress 0
		.amdhsa_shared_vgpr_count 0
		.amdhsa_exception_fp_ieee_invalid_op 0
		.amdhsa_exception_fp_denorm_src 0
		.amdhsa_exception_fp_ieee_div_zero 0
		.amdhsa_exception_fp_ieee_overflow 0
		.amdhsa_exception_fp_ieee_underflow 0
		.amdhsa_exception_fp_ieee_inexact 0
		.amdhsa_exception_int_div_zero 0
	.end_amdhsa_kernel
	.section	.text._ZN2at6native12_GLOBAL__N_137upsample_nearest1d_backward_out_frameIhlXadL_ZNS0_46nearest_neighbor_exact_bw_compute_source_indexEfiiEEEEvPKT_mmmmPS3_f,"axG",@progbits,_ZN2at6native12_GLOBAL__N_137upsample_nearest1d_backward_out_frameIhlXadL_ZNS0_46nearest_neighbor_exact_bw_compute_source_indexEfiiEEEEvPKT_mmmmPS3_f,comdat
.Lfunc_end19:
	.size	_ZN2at6native12_GLOBAL__N_137upsample_nearest1d_backward_out_frameIhlXadL_ZNS0_46nearest_neighbor_exact_bw_compute_source_indexEfiiEEEEvPKT_mmmmPS3_f, .Lfunc_end19-_ZN2at6native12_GLOBAL__N_137upsample_nearest1d_backward_out_frameIhlXadL_ZNS0_46nearest_neighbor_exact_bw_compute_source_indexEfiiEEEEvPKT_mmmmPS3_f
                                        ; -- End function
	.section	.AMDGPU.csdata,"",@progbits
; Kernel info:
; codeLenInByte = 2252
; NumSgprs: 22
; NumVgprs: 12
; ScratchSize: 0
; MemoryBound: 0
; FloatMode: 240
; IeeeMode: 1
; LDSByteSize: 0 bytes/workgroup (compile time only)
; SGPRBlocks: 2
; VGPRBlocks: 1
; NumSGPRsForWavesPerEU: 22
; NumVGPRsForWavesPerEU: 12
; Occupancy: 16
; WaveLimiterHint : 0
; COMPUTE_PGM_RSRC2:SCRATCH_EN: 0
; COMPUTE_PGM_RSRC2:USER_SGPR: 15
; COMPUTE_PGM_RSRC2:TRAP_HANDLER: 0
; COMPUTE_PGM_RSRC2:TGID_X_EN: 1
; COMPUTE_PGM_RSRC2:TGID_Y_EN: 0
; COMPUTE_PGM_RSRC2:TGID_Z_EN: 0
; COMPUTE_PGM_RSRC2:TIDIG_COMP_CNT: 0
	.text
	.p2alignl 7, 3214868480
	.fill 96, 4, 3214868480
	.type	__hip_cuid_96f9c9d1ef80d1,@object ; @__hip_cuid_96f9c9d1ef80d1
	.section	.bss,"aw",@nobits
	.globl	__hip_cuid_96f9c9d1ef80d1
__hip_cuid_96f9c9d1ef80d1:
	.byte	0                               ; 0x0
	.size	__hip_cuid_96f9c9d1ef80d1, 1

	.ident	"AMD clang version 19.0.0git (https://github.com/RadeonOpenCompute/llvm-project roc-6.4.0 25133 c7fe45cf4b819c5991fe208aaa96edf142730f1d)"
	.section	".note.GNU-stack","",@progbits
	.addrsig
	.addrsig_sym __hip_cuid_96f9c9d1ef80d1
	.amdgpu_metadata
---
amdhsa.kernels:
  - .args:
      - .address_space:  global
        .offset:         0
        .size:           8
        .value_kind:     global_buffer
      - .offset:         8
        .size:           8
        .value_kind:     by_value
      - .offset:         16
        .size:           8
        .value_kind:     by_value
      - .offset:         24
        .size:           8
        .value_kind:     by_value
      - .offset:         32
        .size:           8
        .value_kind:     by_value
      - .address_space:  global
        .offset:         40
        .size:           8
        .value_kind:     global_buffer
      - .offset:         48
        .size:           4
        .value_kind:     by_value
      - .offset:         56
        .size:           4
        .value_kind:     hidden_block_count_x
      - .offset:         60
        .size:           4
        .value_kind:     hidden_block_count_y
      - .offset:         64
        .size:           4
        .value_kind:     hidden_block_count_z
      - .offset:         68
        .size:           2
        .value_kind:     hidden_group_size_x
      - .offset:         70
        .size:           2
        .value_kind:     hidden_group_size_y
      - .offset:         72
        .size:           2
        .value_kind:     hidden_group_size_z
      - .offset:         74
        .size:           2
        .value_kind:     hidden_remainder_x
      - .offset:         76
        .size:           2
        .value_kind:     hidden_remainder_y
      - .offset:         78
        .size:           2
        .value_kind:     hidden_remainder_z
      - .offset:         96
        .size:           8
        .value_kind:     hidden_global_offset_x
      - .offset:         104
        .size:           8
        .value_kind:     hidden_global_offset_y
      - .offset:         112
        .size:           8
        .value_kind:     hidden_global_offset_z
      - .offset:         120
        .size:           2
        .value_kind:     hidden_grid_dims
    .group_segment_fixed_size: 0
    .kernarg_segment_align: 8
    .kernarg_segment_size: 312
    .language:       OpenCL C
    .language_version:
      - 2
      - 0
    .max_flat_workgroup_size: 1024
    .name:           _ZN2at6native12_GLOBAL__N_128upsample_nearest1d_out_frameIdXadL_ZNS0_37nearest_neighbor_compute_source_indexEfiiEEEEvPKT_mmmmPS3_f
    .private_segment_fixed_size: 0
    .sgpr_count:     22
    .sgpr_spill_count: 0
    .symbol:         _ZN2at6native12_GLOBAL__N_128upsample_nearest1d_out_frameIdXadL_ZNS0_37nearest_neighbor_compute_source_indexEfiiEEEEvPKT_mmmmPS3_f.kd
    .uniform_work_group_size: 1
    .uses_dynamic_stack: false
    .vgpr_count:     13
    .vgpr_spill_count: 0
    .wavefront_size: 32
    .workgroup_processor_mode: 1
  - .args:
      - .address_space:  global
        .offset:         0
        .size:           8
        .value_kind:     global_buffer
      - .offset:         8
        .size:           8
        .value_kind:     by_value
      - .offset:         16
        .size:           8
        .value_kind:     by_value
      - .offset:         24
        .size:           8
        .value_kind:     by_value
      - .offset:         32
        .size:           8
        .value_kind:     by_value
      - .address_space:  global
        .offset:         40
        .size:           8
        .value_kind:     global_buffer
      - .offset:         48
        .size:           4
        .value_kind:     by_value
      - .offset:         56
        .size:           4
        .value_kind:     hidden_block_count_x
      - .offset:         60
        .size:           4
        .value_kind:     hidden_block_count_y
      - .offset:         64
        .size:           4
        .value_kind:     hidden_block_count_z
      - .offset:         68
        .size:           2
        .value_kind:     hidden_group_size_x
      - .offset:         70
        .size:           2
        .value_kind:     hidden_group_size_y
      - .offset:         72
        .size:           2
        .value_kind:     hidden_group_size_z
      - .offset:         74
        .size:           2
        .value_kind:     hidden_remainder_x
      - .offset:         76
        .size:           2
        .value_kind:     hidden_remainder_y
      - .offset:         78
        .size:           2
        .value_kind:     hidden_remainder_z
      - .offset:         96
        .size:           8
        .value_kind:     hidden_global_offset_x
      - .offset:         104
        .size:           8
        .value_kind:     hidden_global_offset_y
      - .offset:         112
        .size:           8
        .value_kind:     hidden_global_offset_z
      - .offset:         120
        .size:           2
        .value_kind:     hidden_grid_dims
    .group_segment_fixed_size: 0
    .kernarg_segment_align: 8
    .kernarg_segment_size: 312
    .language:       OpenCL C
    .language_version:
      - 2
      - 0
    .max_flat_workgroup_size: 1024
    .name:           _ZN2at6native12_GLOBAL__N_128upsample_nearest1d_out_frameIfXadL_ZNS0_37nearest_neighbor_compute_source_indexEfiiEEEEvPKT_mmmmPS3_f
    .private_segment_fixed_size: 0
    .sgpr_count:     22
    .sgpr_spill_count: 0
    .symbol:         _ZN2at6native12_GLOBAL__N_128upsample_nearest1d_out_frameIfXadL_ZNS0_37nearest_neighbor_compute_source_indexEfiiEEEEvPKT_mmmmPS3_f.kd
    .uniform_work_group_size: 1
    .uses_dynamic_stack: false
    .vgpr_count:     13
    .vgpr_spill_count: 0
    .wavefront_size: 32
    .workgroup_processor_mode: 1
  - .args:
      - .address_space:  global
        .offset:         0
        .size:           8
        .value_kind:     global_buffer
      - .offset:         8
        .size:           8
        .value_kind:     by_value
      - .offset:         16
        .size:           8
        .value_kind:     by_value
      - .offset:         24
        .size:           8
        .value_kind:     by_value
      - .offset:         32
        .size:           8
        .value_kind:     by_value
      - .address_space:  global
        .offset:         40
        .size:           8
        .value_kind:     global_buffer
      - .offset:         48
        .size:           4
        .value_kind:     by_value
      - .offset:         56
        .size:           4
        .value_kind:     hidden_block_count_x
      - .offset:         60
        .size:           4
        .value_kind:     hidden_block_count_y
      - .offset:         64
        .size:           4
        .value_kind:     hidden_block_count_z
      - .offset:         68
        .size:           2
        .value_kind:     hidden_group_size_x
      - .offset:         70
        .size:           2
        .value_kind:     hidden_group_size_y
      - .offset:         72
        .size:           2
        .value_kind:     hidden_group_size_z
      - .offset:         74
        .size:           2
        .value_kind:     hidden_remainder_x
      - .offset:         76
        .size:           2
        .value_kind:     hidden_remainder_y
      - .offset:         78
        .size:           2
        .value_kind:     hidden_remainder_z
      - .offset:         96
        .size:           8
        .value_kind:     hidden_global_offset_x
      - .offset:         104
        .size:           8
        .value_kind:     hidden_global_offset_y
      - .offset:         112
        .size:           8
        .value_kind:     hidden_global_offset_z
      - .offset:         120
        .size:           2
        .value_kind:     hidden_grid_dims
    .group_segment_fixed_size: 0
    .kernarg_segment_align: 8
    .kernarg_segment_size: 312
    .language:       OpenCL C
    .language_version:
      - 2
      - 0
    .max_flat_workgroup_size: 1024
    .name:           _ZN2at6native12_GLOBAL__N_128upsample_nearest1d_out_frameIN3c104HalfEXadL_ZNS0_37nearest_neighbor_compute_source_indexEfiiEEEEvPKT_mmmmPS5_f
    .private_segment_fixed_size: 0
    .sgpr_count:     22
    .sgpr_spill_count: 0
    .symbol:         _ZN2at6native12_GLOBAL__N_128upsample_nearest1d_out_frameIN3c104HalfEXadL_ZNS0_37nearest_neighbor_compute_source_indexEfiiEEEEvPKT_mmmmPS5_f.kd
    .uniform_work_group_size: 1
    .uses_dynamic_stack: false
    .vgpr_count:     13
    .vgpr_spill_count: 0
    .wavefront_size: 32
    .workgroup_processor_mode: 1
  - .args:
      - .address_space:  global
        .offset:         0
        .size:           8
        .value_kind:     global_buffer
      - .offset:         8
        .size:           8
        .value_kind:     by_value
      - .offset:         16
        .size:           8
        .value_kind:     by_value
      - .offset:         24
        .size:           8
        .value_kind:     by_value
      - .offset:         32
        .size:           8
        .value_kind:     by_value
      - .address_space:  global
        .offset:         40
        .size:           8
        .value_kind:     global_buffer
      - .offset:         48
        .size:           4
        .value_kind:     by_value
      - .offset:         56
        .size:           4
        .value_kind:     hidden_block_count_x
      - .offset:         60
        .size:           4
        .value_kind:     hidden_block_count_y
      - .offset:         64
        .size:           4
        .value_kind:     hidden_block_count_z
      - .offset:         68
        .size:           2
        .value_kind:     hidden_group_size_x
      - .offset:         70
        .size:           2
        .value_kind:     hidden_group_size_y
      - .offset:         72
        .size:           2
        .value_kind:     hidden_group_size_z
      - .offset:         74
        .size:           2
        .value_kind:     hidden_remainder_x
      - .offset:         76
        .size:           2
        .value_kind:     hidden_remainder_y
      - .offset:         78
        .size:           2
        .value_kind:     hidden_remainder_z
      - .offset:         96
        .size:           8
        .value_kind:     hidden_global_offset_x
      - .offset:         104
        .size:           8
        .value_kind:     hidden_global_offset_y
      - .offset:         112
        .size:           8
        .value_kind:     hidden_global_offset_z
      - .offset:         120
        .size:           2
        .value_kind:     hidden_grid_dims
    .group_segment_fixed_size: 0
    .kernarg_segment_align: 8
    .kernarg_segment_size: 312
    .language:       OpenCL C
    .language_version:
      - 2
      - 0
    .max_flat_workgroup_size: 1024
    .name:           _ZN2at6native12_GLOBAL__N_128upsample_nearest1d_out_frameIN3c108BFloat16EXadL_ZNS0_37nearest_neighbor_compute_source_indexEfiiEEEEvPKT_mmmmPS5_f
    .private_segment_fixed_size: 0
    .sgpr_count:     22
    .sgpr_spill_count: 0
    .symbol:         _ZN2at6native12_GLOBAL__N_128upsample_nearest1d_out_frameIN3c108BFloat16EXadL_ZNS0_37nearest_neighbor_compute_source_indexEfiiEEEEvPKT_mmmmPS5_f.kd
    .uniform_work_group_size: 1
    .uses_dynamic_stack: false
    .vgpr_count:     13
    .vgpr_spill_count: 0
    .wavefront_size: 32
    .workgroup_processor_mode: 1
  - .args:
      - .address_space:  global
        .offset:         0
        .size:           8
        .value_kind:     global_buffer
      - .offset:         8
        .size:           8
        .value_kind:     by_value
      - .offset:         16
        .size:           8
        .value_kind:     by_value
      - .offset:         24
        .size:           8
        .value_kind:     by_value
      - .offset:         32
        .size:           8
        .value_kind:     by_value
      - .address_space:  global
        .offset:         40
        .size:           8
        .value_kind:     global_buffer
      - .offset:         48
        .size:           4
        .value_kind:     by_value
      - .offset:         56
        .size:           4
        .value_kind:     hidden_block_count_x
      - .offset:         60
        .size:           4
        .value_kind:     hidden_block_count_y
      - .offset:         64
        .size:           4
        .value_kind:     hidden_block_count_z
      - .offset:         68
        .size:           2
        .value_kind:     hidden_group_size_x
      - .offset:         70
        .size:           2
        .value_kind:     hidden_group_size_y
      - .offset:         72
        .size:           2
        .value_kind:     hidden_group_size_z
      - .offset:         74
        .size:           2
        .value_kind:     hidden_remainder_x
      - .offset:         76
        .size:           2
        .value_kind:     hidden_remainder_y
      - .offset:         78
        .size:           2
        .value_kind:     hidden_remainder_z
      - .offset:         96
        .size:           8
        .value_kind:     hidden_global_offset_x
      - .offset:         104
        .size:           8
        .value_kind:     hidden_global_offset_y
      - .offset:         112
        .size:           8
        .value_kind:     hidden_global_offset_z
      - .offset:         120
        .size:           2
        .value_kind:     hidden_grid_dims
    .group_segment_fixed_size: 0
    .kernarg_segment_align: 8
    .kernarg_segment_size: 312
    .language:       OpenCL C
    .language_version:
      - 2
      - 0
    .max_flat_workgroup_size: 1024
    .name:           _ZN2at6native12_GLOBAL__N_128upsample_nearest1d_out_frameIhXadL_ZNS0_37nearest_neighbor_compute_source_indexEfiiEEEEvPKT_mmmmPS3_f
    .private_segment_fixed_size: 0
    .sgpr_count:     22
    .sgpr_spill_count: 0
    .symbol:         _ZN2at6native12_GLOBAL__N_128upsample_nearest1d_out_frameIhXadL_ZNS0_37nearest_neighbor_compute_source_indexEfiiEEEEvPKT_mmmmPS3_f.kd
    .uniform_work_group_size: 1
    .uses_dynamic_stack: false
    .vgpr_count:     13
    .vgpr_spill_count: 0
    .wavefront_size: 32
    .workgroup_processor_mode: 1
  - .args:
      - .address_space:  global
        .offset:         0
        .size:           8
        .value_kind:     global_buffer
      - .offset:         8
        .size:           8
        .value_kind:     by_value
      - .offset:         16
        .size:           8
        .value_kind:     by_value
      - .offset:         24
        .size:           8
        .value_kind:     by_value
      - .offset:         32
        .size:           8
        .value_kind:     by_value
      - .address_space:  global
        .offset:         40
        .size:           8
        .value_kind:     global_buffer
      - .offset:         48
        .size:           4
        .value_kind:     by_value
      - .offset:         56
        .size:           4
        .value_kind:     hidden_block_count_x
      - .offset:         60
        .size:           4
        .value_kind:     hidden_block_count_y
      - .offset:         64
        .size:           4
        .value_kind:     hidden_block_count_z
      - .offset:         68
        .size:           2
        .value_kind:     hidden_group_size_x
      - .offset:         70
        .size:           2
        .value_kind:     hidden_group_size_y
      - .offset:         72
        .size:           2
        .value_kind:     hidden_group_size_z
      - .offset:         74
        .size:           2
        .value_kind:     hidden_remainder_x
      - .offset:         76
        .size:           2
        .value_kind:     hidden_remainder_y
      - .offset:         78
        .size:           2
        .value_kind:     hidden_remainder_z
      - .offset:         96
        .size:           8
        .value_kind:     hidden_global_offset_x
      - .offset:         104
        .size:           8
        .value_kind:     hidden_global_offset_y
      - .offset:         112
        .size:           8
        .value_kind:     hidden_global_offset_z
      - .offset:         120
        .size:           2
        .value_kind:     hidden_grid_dims
    .group_segment_fixed_size: 0
    .kernarg_segment_align: 8
    .kernarg_segment_size: 312
    .language:       OpenCL C
    .language_version:
      - 2
      - 0
    .max_flat_workgroup_size: 1024
    .name:           _ZN2at6native12_GLOBAL__N_128upsample_nearest1d_out_frameIdXadL_ZNS0_43nearest_neighbor_exact_compute_source_indexEfiiEEEEvPKT_mmmmPS3_f
    .private_segment_fixed_size: 0
    .sgpr_count:     22
    .sgpr_spill_count: 0
    .symbol:         _ZN2at6native12_GLOBAL__N_128upsample_nearest1d_out_frameIdXadL_ZNS0_43nearest_neighbor_exact_compute_source_indexEfiiEEEEvPKT_mmmmPS3_f.kd
    .uniform_work_group_size: 1
    .uses_dynamic_stack: false
    .vgpr_count:     13
    .vgpr_spill_count: 0
    .wavefront_size: 32
    .workgroup_processor_mode: 1
  - .args:
      - .address_space:  global
        .offset:         0
        .size:           8
        .value_kind:     global_buffer
      - .offset:         8
        .size:           8
        .value_kind:     by_value
      - .offset:         16
        .size:           8
        .value_kind:     by_value
      - .offset:         24
        .size:           8
        .value_kind:     by_value
      - .offset:         32
        .size:           8
        .value_kind:     by_value
      - .address_space:  global
        .offset:         40
        .size:           8
        .value_kind:     global_buffer
      - .offset:         48
        .size:           4
        .value_kind:     by_value
      - .offset:         56
        .size:           4
        .value_kind:     hidden_block_count_x
      - .offset:         60
        .size:           4
        .value_kind:     hidden_block_count_y
      - .offset:         64
        .size:           4
        .value_kind:     hidden_block_count_z
      - .offset:         68
        .size:           2
        .value_kind:     hidden_group_size_x
      - .offset:         70
        .size:           2
        .value_kind:     hidden_group_size_y
      - .offset:         72
        .size:           2
        .value_kind:     hidden_group_size_z
      - .offset:         74
        .size:           2
        .value_kind:     hidden_remainder_x
      - .offset:         76
        .size:           2
        .value_kind:     hidden_remainder_y
      - .offset:         78
        .size:           2
        .value_kind:     hidden_remainder_z
      - .offset:         96
        .size:           8
        .value_kind:     hidden_global_offset_x
      - .offset:         104
        .size:           8
        .value_kind:     hidden_global_offset_y
      - .offset:         112
        .size:           8
        .value_kind:     hidden_global_offset_z
      - .offset:         120
        .size:           2
        .value_kind:     hidden_grid_dims
    .group_segment_fixed_size: 0
    .kernarg_segment_align: 8
    .kernarg_segment_size: 312
    .language:       OpenCL C
    .language_version:
      - 2
      - 0
    .max_flat_workgroup_size: 1024
    .name:           _ZN2at6native12_GLOBAL__N_128upsample_nearest1d_out_frameIfXadL_ZNS0_43nearest_neighbor_exact_compute_source_indexEfiiEEEEvPKT_mmmmPS3_f
    .private_segment_fixed_size: 0
    .sgpr_count:     22
    .sgpr_spill_count: 0
    .symbol:         _ZN2at6native12_GLOBAL__N_128upsample_nearest1d_out_frameIfXadL_ZNS0_43nearest_neighbor_exact_compute_source_indexEfiiEEEEvPKT_mmmmPS3_f.kd
    .uniform_work_group_size: 1
    .uses_dynamic_stack: false
    .vgpr_count:     13
    .vgpr_spill_count: 0
    .wavefront_size: 32
    .workgroup_processor_mode: 1
  - .args:
      - .address_space:  global
        .offset:         0
        .size:           8
        .value_kind:     global_buffer
      - .offset:         8
        .size:           8
        .value_kind:     by_value
      - .offset:         16
        .size:           8
        .value_kind:     by_value
      - .offset:         24
        .size:           8
        .value_kind:     by_value
      - .offset:         32
        .size:           8
        .value_kind:     by_value
      - .address_space:  global
        .offset:         40
        .size:           8
        .value_kind:     global_buffer
      - .offset:         48
        .size:           4
        .value_kind:     by_value
      - .offset:         56
        .size:           4
        .value_kind:     hidden_block_count_x
      - .offset:         60
        .size:           4
        .value_kind:     hidden_block_count_y
      - .offset:         64
        .size:           4
        .value_kind:     hidden_block_count_z
      - .offset:         68
        .size:           2
        .value_kind:     hidden_group_size_x
      - .offset:         70
        .size:           2
        .value_kind:     hidden_group_size_y
      - .offset:         72
        .size:           2
        .value_kind:     hidden_group_size_z
      - .offset:         74
        .size:           2
        .value_kind:     hidden_remainder_x
      - .offset:         76
        .size:           2
        .value_kind:     hidden_remainder_y
      - .offset:         78
        .size:           2
        .value_kind:     hidden_remainder_z
      - .offset:         96
        .size:           8
        .value_kind:     hidden_global_offset_x
      - .offset:         104
        .size:           8
        .value_kind:     hidden_global_offset_y
      - .offset:         112
        .size:           8
        .value_kind:     hidden_global_offset_z
      - .offset:         120
        .size:           2
        .value_kind:     hidden_grid_dims
    .group_segment_fixed_size: 0
    .kernarg_segment_align: 8
    .kernarg_segment_size: 312
    .language:       OpenCL C
    .language_version:
      - 2
      - 0
    .max_flat_workgroup_size: 1024
    .name:           _ZN2at6native12_GLOBAL__N_128upsample_nearest1d_out_frameIN3c104HalfEXadL_ZNS0_43nearest_neighbor_exact_compute_source_indexEfiiEEEEvPKT_mmmmPS5_f
    .private_segment_fixed_size: 0
    .sgpr_count:     22
    .sgpr_spill_count: 0
    .symbol:         _ZN2at6native12_GLOBAL__N_128upsample_nearest1d_out_frameIN3c104HalfEXadL_ZNS0_43nearest_neighbor_exact_compute_source_indexEfiiEEEEvPKT_mmmmPS5_f.kd
    .uniform_work_group_size: 1
    .uses_dynamic_stack: false
    .vgpr_count:     13
    .vgpr_spill_count: 0
    .wavefront_size: 32
    .workgroup_processor_mode: 1
  - .args:
      - .address_space:  global
        .offset:         0
        .size:           8
        .value_kind:     global_buffer
      - .offset:         8
        .size:           8
        .value_kind:     by_value
      - .offset:         16
        .size:           8
        .value_kind:     by_value
      - .offset:         24
        .size:           8
        .value_kind:     by_value
      - .offset:         32
        .size:           8
        .value_kind:     by_value
      - .address_space:  global
        .offset:         40
        .size:           8
        .value_kind:     global_buffer
      - .offset:         48
        .size:           4
        .value_kind:     by_value
      - .offset:         56
        .size:           4
        .value_kind:     hidden_block_count_x
      - .offset:         60
        .size:           4
        .value_kind:     hidden_block_count_y
      - .offset:         64
        .size:           4
        .value_kind:     hidden_block_count_z
      - .offset:         68
        .size:           2
        .value_kind:     hidden_group_size_x
      - .offset:         70
        .size:           2
        .value_kind:     hidden_group_size_y
      - .offset:         72
        .size:           2
        .value_kind:     hidden_group_size_z
      - .offset:         74
        .size:           2
        .value_kind:     hidden_remainder_x
      - .offset:         76
        .size:           2
        .value_kind:     hidden_remainder_y
      - .offset:         78
        .size:           2
        .value_kind:     hidden_remainder_z
      - .offset:         96
        .size:           8
        .value_kind:     hidden_global_offset_x
      - .offset:         104
        .size:           8
        .value_kind:     hidden_global_offset_y
      - .offset:         112
        .size:           8
        .value_kind:     hidden_global_offset_z
      - .offset:         120
        .size:           2
        .value_kind:     hidden_grid_dims
    .group_segment_fixed_size: 0
    .kernarg_segment_align: 8
    .kernarg_segment_size: 312
    .language:       OpenCL C
    .language_version:
      - 2
      - 0
    .max_flat_workgroup_size: 1024
    .name:           _ZN2at6native12_GLOBAL__N_128upsample_nearest1d_out_frameIN3c108BFloat16EXadL_ZNS0_43nearest_neighbor_exact_compute_source_indexEfiiEEEEvPKT_mmmmPS5_f
    .private_segment_fixed_size: 0
    .sgpr_count:     22
    .sgpr_spill_count: 0
    .symbol:         _ZN2at6native12_GLOBAL__N_128upsample_nearest1d_out_frameIN3c108BFloat16EXadL_ZNS0_43nearest_neighbor_exact_compute_source_indexEfiiEEEEvPKT_mmmmPS5_f.kd
    .uniform_work_group_size: 1
    .uses_dynamic_stack: false
    .vgpr_count:     13
    .vgpr_spill_count: 0
    .wavefront_size: 32
    .workgroup_processor_mode: 1
  - .args:
      - .address_space:  global
        .offset:         0
        .size:           8
        .value_kind:     global_buffer
      - .offset:         8
        .size:           8
        .value_kind:     by_value
      - .offset:         16
        .size:           8
        .value_kind:     by_value
      - .offset:         24
        .size:           8
        .value_kind:     by_value
      - .offset:         32
        .size:           8
        .value_kind:     by_value
      - .address_space:  global
        .offset:         40
        .size:           8
        .value_kind:     global_buffer
      - .offset:         48
        .size:           4
        .value_kind:     by_value
      - .offset:         56
        .size:           4
        .value_kind:     hidden_block_count_x
      - .offset:         60
        .size:           4
        .value_kind:     hidden_block_count_y
      - .offset:         64
        .size:           4
        .value_kind:     hidden_block_count_z
      - .offset:         68
        .size:           2
        .value_kind:     hidden_group_size_x
      - .offset:         70
        .size:           2
        .value_kind:     hidden_group_size_y
      - .offset:         72
        .size:           2
        .value_kind:     hidden_group_size_z
      - .offset:         74
        .size:           2
        .value_kind:     hidden_remainder_x
      - .offset:         76
        .size:           2
        .value_kind:     hidden_remainder_y
      - .offset:         78
        .size:           2
        .value_kind:     hidden_remainder_z
      - .offset:         96
        .size:           8
        .value_kind:     hidden_global_offset_x
      - .offset:         104
        .size:           8
        .value_kind:     hidden_global_offset_y
      - .offset:         112
        .size:           8
        .value_kind:     hidden_global_offset_z
      - .offset:         120
        .size:           2
        .value_kind:     hidden_grid_dims
    .group_segment_fixed_size: 0
    .kernarg_segment_align: 8
    .kernarg_segment_size: 312
    .language:       OpenCL C
    .language_version:
      - 2
      - 0
    .max_flat_workgroup_size: 1024
    .name:           _ZN2at6native12_GLOBAL__N_128upsample_nearest1d_out_frameIhXadL_ZNS0_43nearest_neighbor_exact_compute_source_indexEfiiEEEEvPKT_mmmmPS3_f
    .private_segment_fixed_size: 0
    .sgpr_count:     22
    .sgpr_spill_count: 0
    .symbol:         _ZN2at6native12_GLOBAL__N_128upsample_nearest1d_out_frameIhXadL_ZNS0_43nearest_neighbor_exact_compute_source_indexEfiiEEEEvPKT_mmmmPS3_f.kd
    .uniform_work_group_size: 1
    .uses_dynamic_stack: false
    .vgpr_count:     13
    .vgpr_spill_count: 0
    .wavefront_size: 32
    .workgroup_processor_mode: 1
  - .args:
      - .address_space:  global
        .offset:         0
        .size:           8
        .value_kind:     global_buffer
      - .offset:         8
        .size:           8
        .value_kind:     by_value
      - .offset:         16
        .size:           8
        .value_kind:     by_value
      - .offset:         24
        .size:           8
        .value_kind:     by_value
      - .offset:         32
        .size:           8
        .value_kind:     by_value
      - .address_space:  global
        .offset:         40
        .size:           8
        .value_kind:     global_buffer
      - .offset:         48
        .size:           4
        .value_kind:     by_value
      - .offset:         56
        .size:           4
        .value_kind:     hidden_block_count_x
      - .offset:         60
        .size:           4
        .value_kind:     hidden_block_count_y
      - .offset:         64
        .size:           4
        .value_kind:     hidden_block_count_z
      - .offset:         68
        .size:           2
        .value_kind:     hidden_group_size_x
      - .offset:         70
        .size:           2
        .value_kind:     hidden_group_size_y
      - .offset:         72
        .size:           2
        .value_kind:     hidden_group_size_z
      - .offset:         74
        .size:           2
        .value_kind:     hidden_remainder_x
      - .offset:         76
        .size:           2
        .value_kind:     hidden_remainder_y
      - .offset:         78
        .size:           2
        .value_kind:     hidden_remainder_z
      - .offset:         96
        .size:           8
        .value_kind:     hidden_global_offset_x
      - .offset:         104
        .size:           8
        .value_kind:     hidden_global_offset_y
      - .offset:         112
        .size:           8
        .value_kind:     hidden_global_offset_z
      - .offset:         120
        .size:           2
        .value_kind:     hidden_grid_dims
    .group_segment_fixed_size: 0
    .kernarg_segment_align: 8
    .kernarg_segment_size: 312
    .language:       OpenCL C
    .language_version:
      - 2
      - 0
    .max_flat_workgroup_size: 1024
    .name:           _ZN2at6native12_GLOBAL__N_137upsample_nearest1d_backward_out_frameIddXadL_ZNS0_40nearest_neighbor_bw_compute_source_indexEfiiEEEEvPKT_mmmmPS3_f
    .private_segment_fixed_size: 0
    .sgpr_count:     22
    .sgpr_spill_count: 0
    .symbol:         _ZN2at6native12_GLOBAL__N_137upsample_nearest1d_backward_out_frameIddXadL_ZNS0_40nearest_neighbor_bw_compute_source_indexEfiiEEEEvPKT_mmmmPS3_f.kd
    .uniform_work_group_size: 1
    .uses_dynamic_stack: false
    .vgpr_count:     12
    .vgpr_spill_count: 0
    .wavefront_size: 32
    .workgroup_processor_mode: 1
  - .args:
      - .address_space:  global
        .offset:         0
        .size:           8
        .value_kind:     global_buffer
      - .offset:         8
        .size:           8
        .value_kind:     by_value
      - .offset:         16
        .size:           8
        .value_kind:     by_value
      - .offset:         24
        .size:           8
        .value_kind:     by_value
      - .offset:         32
        .size:           8
        .value_kind:     by_value
      - .address_space:  global
        .offset:         40
        .size:           8
        .value_kind:     global_buffer
      - .offset:         48
        .size:           4
        .value_kind:     by_value
      - .offset:         56
        .size:           4
        .value_kind:     hidden_block_count_x
      - .offset:         60
        .size:           4
        .value_kind:     hidden_block_count_y
      - .offset:         64
        .size:           4
        .value_kind:     hidden_block_count_z
      - .offset:         68
        .size:           2
        .value_kind:     hidden_group_size_x
      - .offset:         70
        .size:           2
        .value_kind:     hidden_group_size_y
      - .offset:         72
        .size:           2
        .value_kind:     hidden_group_size_z
      - .offset:         74
        .size:           2
        .value_kind:     hidden_remainder_x
      - .offset:         76
        .size:           2
        .value_kind:     hidden_remainder_y
      - .offset:         78
        .size:           2
        .value_kind:     hidden_remainder_z
      - .offset:         96
        .size:           8
        .value_kind:     hidden_global_offset_x
      - .offset:         104
        .size:           8
        .value_kind:     hidden_global_offset_y
      - .offset:         112
        .size:           8
        .value_kind:     hidden_global_offset_z
      - .offset:         120
        .size:           2
        .value_kind:     hidden_grid_dims
    .group_segment_fixed_size: 0
    .kernarg_segment_align: 8
    .kernarg_segment_size: 312
    .language:       OpenCL C
    .language_version:
      - 2
      - 0
    .max_flat_workgroup_size: 1024
    .name:           _ZN2at6native12_GLOBAL__N_137upsample_nearest1d_backward_out_frameIffXadL_ZNS0_40nearest_neighbor_bw_compute_source_indexEfiiEEEEvPKT_mmmmPS3_f
    .private_segment_fixed_size: 0
    .sgpr_count:     22
    .sgpr_spill_count: 0
    .symbol:         _ZN2at6native12_GLOBAL__N_137upsample_nearest1d_backward_out_frameIffXadL_ZNS0_40nearest_neighbor_bw_compute_source_indexEfiiEEEEvPKT_mmmmPS3_f.kd
    .uniform_work_group_size: 1
    .uses_dynamic_stack: false
    .vgpr_count:     12
    .vgpr_spill_count: 0
    .wavefront_size: 32
    .workgroup_processor_mode: 1
  - .args:
      - .address_space:  global
        .offset:         0
        .size:           8
        .value_kind:     global_buffer
      - .offset:         8
        .size:           8
        .value_kind:     by_value
      - .offset:         16
        .size:           8
        .value_kind:     by_value
      - .offset:         24
        .size:           8
        .value_kind:     by_value
      - .offset:         32
        .size:           8
        .value_kind:     by_value
      - .address_space:  global
        .offset:         40
        .size:           8
        .value_kind:     global_buffer
      - .offset:         48
        .size:           4
        .value_kind:     by_value
      - .offset:         56
        .size:           4
        .value_kind:     hidden_block_count_x
      - .offset:         60
        .size:           4
        .value_kind:     hidden_block_count_y
      - .offset:         64
        .size:           4
        .value_kind:     hidden_block_count_z
      - .offset:         68
        .size:           2
        .value_kind:     hidden_group_size_x
      - .offset:         70
        .size:           2
        .value_kind:     hidden_group_size_y
      - .offset:         72
        .size:           2
        .value_kind:     hidden_group_size_z
      - .offset:         74
        .size:           2
        .value_kind:     hidden_remainder_x
      - .offset:         76
        .size:           2
        .value_kind:     hidden_remainder_y
      - .offset:         78
        .size:           2
        .value_kind:     hidden_remainder_z
      - .offset:         96
        .size:           8
        .value_kind:     hidden_global_offset_x
      - .offset:         104
        .size:           8
        .value_kind:     hidden_global_offset_y
      - .offset:         112
        .size:           8
        .value_kind:     hidden_global_offset_z
      - .offset:         120
        .size:           2
        .value_kind:     hidden_grid_dims
    .group_segment_fixed_size: 0
    .kernarg_segment_align: 8
    .kernarg_segment_size: 312
    .language:       OpenCL C
    .language_version:
      - 2
      - 0
    .max_flat_workgroup_size: 1024
    .name:           _ZN2at6native12_GLOBAL__N_137upsample_nearest1d_backward_out_frameIN3c104HalfEfXadL_ZNS0_40nearest_neighbor_bw_compute_source_indexEfiiEEEEvPKT_mmmmPS5_f
    .private_segment_fixed_size: 0
    .sgpr_count:     22
    .sgpr_spill_count: 0
    .symbol:         _ZN2at6native12_GLOBAL__N_137upsample_nearest1d_backward_out_frameIN3c104HalfEfXadL_ZNS0_40nearest_neighbor_bw_compute_source_indexEfiiEEEEvPKT_mmmmPS5_f.kd
    .uniform_work_group_size: 1
    .uses_dynamic_stack: false
    .vgpr_count:     12
    .vgpr_spill_count: 0
    .wavefront_size: 32
    .workgroup_processor_mode: 1
  - .args:
      - .address_space:  global
        .offset:         0
        .size:           8
        .value_kind:     global_buffer
      - .offset:         8
        .size:           8
        .value_kind:     by_value
      - .offset:         16
        .size:           8
        .value_kind:     by_value
      - .offset:         24
        .size:           8
        .value_kind:     by_value
      - .offset:         32
        .size:           8
        .value_kind:     by_value
      - .address_space:  global
        .offset:         40
        .size:           8
        .value_kind:     global_buffer
      - .offset:         48
        .size:           4
        .value_kind:     by_value
      - .offset:         56
        .size:           4
        .value_kind:     hidden_block_count_x
      - .offset:         60
        .size:           4
        .value_kind:     hidden_block_count_y
      - .offset:         64
        .size:           4
        .value_kind:     hidden_block_count_z
      - .offset:         68
        .size:           2
        .value_kind:     hidden_group_size_x
      - .offset:         70
        .size:           2
        .value_kind:     hidden_group_size_y
      - .offset:         72
        .size:           2
        .value_kind:     hidden_group_size_z
      - .offset:         74
        .size:           2
        .value_kind:     hidden_remainder_x
      - .offset:         76
        .size:           2
        .value_kind:     hidden_remainder_y
      - .offset:         78
        .size:           2
        .value_kind:     hidden_remainder_z
      - .offset:         96
        .size:           8
        .value_kind:     hidden_global_offset_x
      - .offset:         104
        .size:           8
        .value_kind:     hidden_global_offset_y
      - .offset:         112
        .size:           8
        .value_kind:     hidden_global_offset_z
      - .offset:         120
        .size:           2
        .value_kind:     hidden_grid_dims
    .group_segment_fixed_size: 0
    .kernarg_segment_align: 8
    .kernarg_segment_size: 312
    .language:       OpenCL C
    .language_version:
      - 2
      - 0
    .max_flat_workgroup_size: 1024
    .name:           _ZN2at6native12_GLOBAL__N_137upsample_nearest1d_backward_out_frameIN3c108BFloat16EfXadL_ZNS0_40nearest_neighbor_bw_compute_source_indexEfiiEEEEvPKT_mmmmPS5_f
    .private_segment_fixed_size: 0
    .sgpr_count:     22
    .sgpr_spill_count: 0
    .symbol:         _ZN2at6native12_GLOBAL__N_137upsample_nearest1d_backward_out_frameIN3c108BFloat16EfXadL_ZNS0_40nearest_neighbor_bw_compute_source_indexEfiiEEEEvPKT_mmmmPS5_f.kd
    .uniform_work_group_size: 1
    .uses_dynamic_stack: false
    .vgpr_count:     12
    .vgpr_spill_count: 0
    .wavefront_size: 32
    .workgroup_processor_mode: 1
  - .args:
      - .address_space:  global
        .offset:         0
        .size:           8
        .value_kind:     global_buffer
      - .offset:         8
        .size:           8
        .value_kind:     by_value
      - .offset:         16
        .size:           8
        .value_kind:     by_value
      - .offset:         24
        .size:           8
        .value_kind:     by_value
      - .offset:         32
        .size:           8
        .value_kind:     by_value
      - .address_space:  global
        .offset:         40
        .size:           8
        .value_kind:     global_buffer
      - .offset:         48
        .size:           4
        .value_kind:     by_value
      - .offset:         56
        .size:           4
        .value_kind:     hidden_block_count_x
      - .offset:         60
        .size:           4
        .value_kind:     hidden_block_count_y
      - .offset:         64
        .size:           4
        .value_kind:     hidden_block_count_z
      - .offset:         68
        .size:           2
        .value_kind:     hidden_group_size_x
      - .offset:         70
        .size:           2
        .value_kind:     hidden_group_size_y
      - .offset:         72
        .size:           2
        .value_kind:     hidden_group_size_z
      - .offset:         74
        .size:           2
        .value_kind:     hidden_remainder_x
      - .offset:         76
        .size:           2
        .value_kind:     hidden_remainder_y
      - .offset:         78
        .size:           2
        .value_kind:     hidden_remainder_z
      - .offset:         96
        .size:           8
        .value_kind:     hidden_global_offset_x
      - .offset:         104
        .size:           8
        .value_kind:     hidden_global_offset_y
      - .offset:         112
        .size:           8
        .value_kind:     hidden_global_offset_z
      - .offset:         120
        .size:           2
        .value_kind:     hidden_grid_dims
    .group_segment_fixed_size: 0
    .kernarg_segment_align: 8
    .kernarg_segment_size: 312
    .language:       OpenCL C
    .language_version:
      - 2
      - 0
    .max_flat_workgroup_size: 1024
    .name:           _ZN2at6native12_GLOBAL__N_137upsample_nearest1d_backward_out_frameIhlXadL_ZNS0_40nearest_neighbor_bw_compute_source_indexEfiiEEEEvPKT_mmmmPS3_f
    .private_segment_fixed_size: 0
    .sgpr_count:     22
    .sgpr_spill_count: 0
    .symbol:         _ZN2at6native12_GLOBAL__N_137upsample_nearest1d_backward_out_frameIhlXadL_ZNS0_40nearest_neighbor_bw_compute_source_indexEfiiEEEEvPKT_mmmmPS3_f.kd
    .uniform_work_group_size: 1
    .uses_dynamic_stack: false
    .vgpr_count:     12
    .vgpr_spill_count: 0
    .wavefront_size: 32
    .workgroup_processor_mode: 1
  - .args:
      - .address_space:  global
        .offset:         0
        .size:           8
        .value_kind:     global_buffer
      - .offset:         8
        .size:           8
        .value_kind:     by_value
      - .offset:         16
        .size:           8
        .value_kind:     by_value
      - .offset:         24
        .size:           8
        .value_kind:     by_value
      - .offset:         32
        .size:           8
        .value_kind:     by_value
      - .address_space:  global
        .offset:         40
        .size:           8
        .value_kind:     global_buffer
      - .offset:         48
        .size:           4
        .value_kind:     by_value
      - .offset:         56
        .size:           4
        .value_kind:     hidden_block_count_x
      - .offset:         60
        .size:           4
        .value_kind:     hidden_block_count_y
      - .offset:         64
        .size:           4
        .value_kind:     hidden_block_count_z
      - .offset:         68
        .size:           2
        .value_kind:     hidden_group_size_x
      - .offset:         70
        .size:           2
        .value_kind:     hidden_group_size_y
      - .offset:         72
        .size:           2
        .value_kind:     hidden_group_size_z
      - .offset:         74
        .size:           2
        .value_kind:     hidden_remainder_x
      - .offset:         76
        .size:           2
        .value_kind:     hidden_remainder_y
      - .offset:         78
        .size:           2
        .value_kind:     hidden_remainder_z
      - .offset:         96
        .size:           8
        .value_kind:     hidden_global_offset_x
      - .offset:         104
        .size:           8
        .value_kind:     hidden_global_offset_y
      - .offset:         112
        .size:           8
        .value_kind:     hidden_global_offset_z
      - .offset:         120
        .size:           2
        .value_kind:     hidden_grid_dims
    .group_segment_fixed_size: 0
    .kernarg_segment_align: 8
    .kernarg_segment_size: 312
    .language:       OpenCL C
    .language_version:
      - 2
      - 0
    .max_flat_workgroup_size: 1024
    .name:           _ZN2at6native12_GLOBAL__N_137upsample_nearest1d_backward_out_frameIddXadL_ZNS0_46nearest_neighbor_exact_bw_compute_source_indexEfiiEEEEvPKT_mmmmPS3_f
    .private_segment_fixed_size: 0
    .sgpr_count:     22
    .sgpr_spill_count: 0
    .symbol:         _ZN2at6native12_GLOBAL__N_137upsample_nearest1d_backward_out_frameIddXadL_ZNS0_46nearest_neighbor_exact_bw_compute_source_indexEfiiEEEEvPKT_mmmmPS3_f.kd
    .uniform_work_group_size: 1
    .uses_dynamic_stack: false
    .vgpr_count:     12
    .vgpr_spill_count: 0
    .wavefront_size: 32
    .workgroup_processor_mode: 1
  - .args:
      - .address_space:  global
        .offset:         0
        .size:           8
        .value_kind:     global_buffer
      - .offset:         8
        .size:           8
        .value_kind:     by_value
      - .offset:         16
        .size:           8
        .value_kind:     by_value
      - .offset:         24
        .size:           8
        .value_kind:     by_value
      - .offset:         32
        .size:           8
        .value_kind:     by_value
      - .address_space:  global
        .offset:         40
        .size:           8
        .value_kind:     global_buffer
      - .offset:         48
        .size:           4
        .value_kind:     by_value
      - .offset:         56
        .size:           4
        .value_kind:     hidden_block_count_x
      - .offset:         60
        .size:           4
        .value_kind:     hidden_block_count_y
      - .offset:         64
        .size:           4
        .value_kind:     hidden_block_count_z
      - .offset:         68
        .size:           2
        .value_kind:     hidden_group_size_x
      - .offset:         70
        .size:           2
        .value_kind:     hidden_group_size_y
      - .offset:         72
        .size:           2
        .value_kind:     hidden_group_size_z
      - .offset:         74
        .size:           2
        .value_kind:     hidden_remainder_x
      - .offset:         76
        .size:           2
        .value_kind:     hidden_remainder_y
      - .offset:         78
        .size:           2
        .value_kind:     hidden_remainder_z
      - .offset:         96
        .size:           8
        .value_kind:     hidden_global_offset_x
      - .offset:         104
        .size:           8
        .value_kind:     hidden_global_offset_y
      - .offset:         112
        .size:           8
        .value_kind:     hidden_global_offset_z
      - .offset:         120
        .size:           2
        .value_kind:     hidden_grid_dims
    .group_segment_fixed_size: 0
    .kernarg_segment_align: 8
    .kernarg_segment_size: 312
    .language:       OpenCL C
    .language_version:
      - 2
      - 0
    .max_flat_workgroup_size: 1024
    .name:           _ZN2at6native12_GLOBAL__N_137upsample_nearest1d_backward_out_frameIffXadL_ZNS0_46nearest_neighbor_exact_bw_compute_source_indexEfiiEEEEvPKT_mmmmPS3_f
    .private_segment_fixed_size: 0
    .sgpr_count:     22
    .sgpr_spill_count: 0
    .symbol:         _ZN2at6native12_GLOBAL__N_137upsample_nearest1d_backward_out_frameIffXadL_ZNS0_46nearest_neighbor_exact_bw_compute_source_indexEfiiEEEEvPKT_mmmmPS3_f.kd
    .uniform_work_group_size: 1
    .uses_dynamic_stack: false
    .vgpr_count:     12
    .vgpr_spill_count: 0
    .wavefront_size: 32
    .workgroup_processor_mode: 1
  - .args:
      - .address_space:  global
        .offset:         0
        .size:           8
        .value_kind:     global_buffer
      - .offset:         8
        .size:           8
        .value_kind:     by_value
      - .offset:         16
        .size:           8
        .value_kind:     by_value
      - .offset:         24
        .size:           8
        .value_kind:     by_value
      - .offset:         32
        .size:           8
        .value_kind:     by_value
      - .address_space:  global
        .offset:         40
        .size:           8
        .value_kind:     global_buffer
      - .offset:         48
        .size:           4
        .value_kind:     by_value
      - .offset:         56
        .size:           4
        .value_kind:     hidden_block_count_x
      - .offset:         60
        .size:           4
        .value_kind:     hidden_block_count_y
      - .offset:         64
        .size:           4
        .value_kind:     hidden_block_count_z
      - .offset:         68
        .size:           2
        .value_kind:     hidden_group_size_x
      - .offset:         70
        .size:           2
        .value_kind:     hidden_group_size_y
      - .offset:         72
        .size:           2
        .value_kind:     hidden_group_size_z
      - .offset:         74
        .size:           2
        .value_kind:     hidden_remainder_x
      - .offset:         76
        .size:           2
        .value_kind:     hidden_remainder_y
      - .offset:         78
        .size:           2
        .value_kind:     hidden_remainder_z
      - .offset:         96
        .size:           8
        .value_kind:     hidden_global_offset_x
      - .offset:         104
        .size:           8
        .value_kind:     hidden_global_offset_y
      - .offset:         112
        .size:           8
        .value_kind:     hidden_global_offset_z
      - .offset:         120
        .size:           2
        .value_kind:     hidden_grid_dims
    .group_segment_fixed_size: 0
    .kernarg_segment_align: 8
    .kernarg_segment_size: 312
    .language:       OpenCL C
    .language_version:
      - 2
      - 0
    .max_flat_workgroup_size: 1024
    .name:           _ZN2at6native12_GLOBAL__N_137upsample_nearest1d_backward_out_frameIN3c104HalfEfXadL_ZNS0_46nearest_neighbor_exact_bw_compute_source_indexEfiiEEEEvPKT_mmmmPS5_f
    .private_segment_fixed_size: 0
    .sgpr_count:     22
    .sgpr_spill_count: 0
    .symbol:         _ZN2at6native12_GLOBAL__N_137upsample_nearest1d_backward_out_frameIN3c104HalfEfXadL_ZNS0_46nearest_neighbor_exact_bw_compute_source_indexEfiiEEEEvPKT_mmmmPS5_f.kd
    .uniform_work_group_size: 1
    .uses_dynamic_stack: false
    .vgpr_count:     12
    .vgpr_spill_count: 0
    .wavefront_size: 32
    .workgroup_processor_mode: 1
  - .args:
      - .address_space:  global
        .offset:         0
        .size:           8
        .value_kind:     global_buffer
      - .offset:         8
        .size:           8
        .value_kind:     by_value
      - .offset:         16
        .size:           8
        .value_kind:     by_value
      - .offset:         24
        .size:           8
        .value_kind:     by_value
      - .offset:         32
        .size:           8
        .value_kind:     by_value
      - .address_space:  global
        .offset:         40
        .size:           8
        .value_kind:     global_buffer
      - .offset:         48
        .size:           4
        .value_kind:     by_value
      - .offset:         56
        .size:           4
        .value_kind:     hidden_block_count_x
      - .offset:         60
        .size:           4
        .value_kind:     hidden_block_count_y
      - .offset:         64
        .size:           4
        .value_kind:     hidden_block_count_z
      - .offset:         68
        .size:           2
        .value_kind:     hidden_group_size_x
      - .offset:         70
        .size:           2
        .value_kind:     hidden_group_size_y
      - .offset:         72
        .size:           2
        .value_kind:     hidden_group_size_z
      - .offset:         74
        .size:           2
        .value_kind:     hidden_remainder_x
      - .offset:         76
        .size:           2
        .value_kind:     hidden_remainder_y
      - .offset:         78
        .size:           2
        .value_kind:     hidden_remainder_z
      - .offset:         96
        .size:           8
        .value_kind:     hidden_global_offset_x
      - .offset:         104
        .size:           8
        .value_kind:     hidden_global_offset_y
      - .offset:         112
        .size:           8
        .value_kind:     hidden_global_offset_z
      - .offset:         120
        .size:           2
        .value_kind:     hidden_grid_dims
    .group_segment_fixed_size: 0
    .kernarg_segment_align: 8
    .kernarg_segment_size: 312
    .language:       OpenCL C
    .language_version:
      - 2
      - 0
    .max_flat_workgroup_size: 1024
    .name:           _ZN2at6native12_GLOBAL__N_137upsample_nearest1d_backward_out_frameIN3c108BFloat16EfXadL_ZNS0_46nearest_neighbor_exact_bw_compute_source_indexEfiiEEEEvPKT_mmmmPS5_f
    .private_segment_fixed_size: 0
    .sgpr_count:     22
    .sgpr_spill_count: 0
    .symbol:         _ZN2at6native12_GLOBAL__N_137upsample_nearest1d_backward_out_frameIN3c108BFloat16EfXadL_ZNS0_46nearest_neighbor_exact_bw_compute_source_indexEfiiEEEEvPKT_mmmmPS5_f.kd
    .uniform_work_group_size: 1
    .uses_dynamic_stack: false
    .vgpr_count:     12
    .vgpr_spill_count: 0
    .wavefront_size: 32
    .workgroup_processor_mode: 1
  - .args:
      - .address_space:  global
        .offset:         0
        .size:           8
        .value_kind:     global_buffer
      - .offset:         8
        .size:           8
        .value_kind:     by_value
      - .offset:         16
        .size:           8
        .value_kind:     by_value
      - .offset:         24
        .size:           8
        .value_kind:     by_value
      - .offset:         32
        .size:           8
        .value_kind:     by_value
      - .address_space:  global
        .offset:         40
        .size:           8
        .value_kind:     global_buffer
      - .offset:         48
        .size:           4
        .value_kind:     by_value
      - .offset:         56
        .size:           4
        .value_kind:     hidden_block_count_x
      - .offset:         60
        .size:           4
        .value_kind:     hidden_block_count_y
      - .offset:         64
        .size:           4
        .value_kind:     hidden_block_count_z
      - .offset:         68
        .size:           2
        .value_kind:     hidden_group_size_x
      - .offset:         70
        .size:           2
        .value_kind:     hidden_group_size_y
      - .offset:         72
        .size:           2
        .value_kind:     hidden_group_size_z
      - .offset:         74
        .size:           2
        .value_kind:     hidden_remainder_x
      - .offset:         76
        .size:           2
        .value_kind:     hidden_remainder_y
      - .offset:         78
        .size:           2
        .value_kind:     hidden_remainder_z
      - .offset:         96
        .size:           8
        .value_kind:     hidden_global_offset_x
      - .offset:         104
        .size:           8
        .value_kind:     hidden_global_offset_y
      - .offset:         112
        .size:           8
        .value_kind:     hidden_global_offset_z
      - .offset:         120
        .size:           2
        .value_kind:     hidden_grid_dims
    .group_segment_fixed_size: 0
    .kernarg_segment_align: 8
    .kernarg_segment_size: 312
    .language:       OpenCL C
    .language_version:
      - 2
      - 0
    .max_flat_workgroup_size: 1024
    .name:           _ZN2at6native12_GLOBAL__N_137upsample_nearest1d_backward_out_frameIhlXadL_ZNS0_46nearest_neighbor_exact_bw_compute_source_indexEfiiEEEEvPKT_mmmmPS3_f
    .private_segment_fixed_size: 0
    .sgpr_count:     22
    .sgpr_spill_count: 0
    .symbol:         _ZN2at6native12_GLOBAL__N_137upsample_nearest1d_backward_out_frameIhlXadL_ZNS0_46nearest_neighbor_exact_bw_compute_source_indexEfiiEEEEvPKT_mmmmPS3_f.kd
    .uniform_work_group_size: 1
    .uses_dynamic_stack: false
    .vgpr_count:     12
    .vgpr_spill_count: 0
    .wavefront_size: 32
    .workgroup_processor_mode: 1
amdhsa.target:   amdgcn-amd-amdhsa--gfx1100
amdhsa.version:
  - 1
  - 2
...

	.end_amdgpu_metadata
